;; amdgpu-corpus repo=ROCm/aiter kind=harvested arch=n/a opt=n/a

/root/src/amdgpu-assembly/repos/ROCm__aiter/hsa/gfx942/pa/pa_bf16_pertokenFp8_gqa16_1tg_4w_qlen1_msk1_ps.co:	file format elf64-amdgpu

Disassembly of section .text:

0000000000002700 <_ZN5aiter42PA_A16W8_BLK1024_1TG_4W_16mx1_64nx4_MTP_PSE>:
	s_and_b32 s1, s1, 0xffff                                   // 000000002700: 8601FF01 0000FFFF
	s_load_dwordx2 s[36:37], s[0:1], 0x110                     // 000000002708: C0060900 00000110
	s_load_dwordx2 s[38:39], s[0:1], 0x120                     // 000000002710: C0060980 00000120
	v_lshrrev_b32_e32 v1, 10, v0                               // 000000002718: 2002008A
	v_lshrrev_b32_e32 v2, 10, v1                               // 00000000271C: 2004028A
	v_and_b32_e32 v2, 0x3ff, v2                                // 000000002720: 260404FF 000003FF
	v_and_b32_e32 v1, 0x3ff, v1                                // 000000002728: 260202FF 000003FF
	v_and_b32_e32 v0, 0x3ff, v0                                // 000000002730: 260000FF 000003FF
	v_lshrrev_b32_e32 v3, 6, v0                                // 000000002738: 20060086
	v_and_b32_e32 v0, 63, v0                                   // 00000000273C: 260000BF
	s_mov_b32 s55, s2                                          // 000000002740: BEB70002
	v_readfirstlane_b32 s54, v3                                // 000000002744: 7E6C0503
	s_waitcnt lgkmcnt(0)                                       // 000000002748: BF8CC07F
	s_mul_i32 s48, s55, 4                                      // 00000000274C: 92308437
	s_and_b32 s37, s37, 0xffff                                 // 000000002750: 8625FF25 0000FFFF
	s_add_u32 s36, s48, s36                                    // 000000002758: 80242430
	s_addc_u32 s37, 0, s37                                     // 00000000275C: 82252580
	s_load_dword s90, s[36:37], 0x0                            // 000000002760: C0021692 00000000
	s_load_dword s91, s[36:37], 0x4                            // 000000002768: C00216D2 00000004
	s_waitcnt lgkmcnt(0)                                       // 000000002770: BF8CC07F
	s_cmp_eq_i32 s90, s91                                      // 000000002774: BF005B5A
	s_cbranch_scc1 label_2071                                  // 000000002778: BF852052
	s_load_dword s58, s[0:1], 0x80                             // 00000000277C: C0020E80 00000080
	s_load_dword s59, s[0:1], 0x90                             // 000000002784: C0020EC0 00000090
	s_load_dword s60, s[0:1], 0xa0                             // 00000000278C: C0020F00 000000A0
	s_load_dword s62, s[0:1], 0xb0                             // 000000002794: C0020F80 000000B0
	s_load_dword s63, s[0:1], 0xc0                             // 00000000279C: C0020FC0 000000C0
	s_load_dword s72, s[0:1], 0xd0                             // 0000000027A4: C0021200 000000D0
	s_load_dword s73, s[0:1], 0xe0                             // 0000000027AC: C0021240 000000E0
	s_mov_b32 s50, 0x7060302                                   // 0000000027B4: BEB200FF 07060302
	s_mov_b32 s51, 0x400                                       // 0000000027BC: BEB300FF 00000400
	s_mov_b32 s52, 0x40100                                     // 0000000027C4: BEB400FF 00040100
	s_mov_b32 s53, 0x4020100                                   // 0000000027CC: BEB500FF 04020100
	v_mov_b32_e32 v105, 0xff800000                             // 0000000027D4: 7ED202FF FF800000

00000000000027dc <label_0037>:
	s_waitcnt vmcnt(0) expcnt(0) lgkmcnt(0)                    // 0000000027DC: BF8C0000
	s_lshl_b32 s48, s90, 5                                     // 0000000027E0: 8E30855A
	s_and_b32 s39, s39, 0xffff                                 // 0000000027E4: 8627FF27 0000FFFF
	s_load_dwordx8 s[92:99], s[38:39], s48                     // 0000000027EC: C00C1713 00000030
	s_waitcnt lgkmcnt(0)                                       // 0000000027F4: BF8CC07F
	s_and_b32 s49, s99, 0xffff                                 // 0000000027F8: 8631FF63 0000FFFF
	v_cvt_f32_u32_e32 v72, s73                                 // 000000002800: 7E900C49
	s_sub_i32 s48, 0, s73                                      // 000000002804: 81B04980
	v_rcp_iflag_f32_e32 v72, v72                               // 000000002808: 7E904748
	s_nop 0                                                    // 00000000280C: BF800000
	v_mul_f32_e32 v72, 0x4f7ffffe, v72                         // 000000002810: 0A9090FF 4F7FFFFE
	v_cvt_u32_f32_e32 v72, v72                                 // 000000002818: 7E900F48
	v_mul_lo_u32 v73, s48, v72                                 // 00000000281C: D2850049 00029030
	v_mul_hi_u32 v73, v72, v73                                 // 000000002824: D2860049 00029348
	v_add_u32_e32 v72, v72, v73                                // 00000000282C: 68909348
	v_mul_hi_u32 v72, s49, v72                                 // 000000002830: D2860048 00029031
	v_mul_lo_u32 v73, v72, s73                                 // 000000002838: D2850049 00009348
	v_sub_u32_e32 v75, s49, v73                                // 000000002840: 6A969231
	v_add_u32_e32 v74, 1, v72                                  // 000000002844: 68949081
	v_cmp_le_u32_e32 vcc, s73, v75                             // 000000002848: 7D969649
	v_subrev_u32_e32 v73, s73, v75                             // 00000000284C: 6C929649
	s_nop 0                                                    // 000000002850: BF800000
	v_cndmask_b32_e32 v72, v72, v74, vcc                       // 000000002854: 00909548
	v_cndmask_b32_e32 v75, v75, v73, vcc                       // 000000002858: 0096934B
	v_add_u32_e32 v73, 1, v72                                  // 00000000285C: 68929081
	v_cmp_le_u32_e32 vcc, s73, v75                             // 000000002860: 7D969649
	s_nop 1                                                    // 000000002864: BF800001
	v_cndmask_b32_e32 v75, v72, v73, vcc                       // 000000002868: 00969348
	s_nop 3                                                    // 00000000286C: BF800003
	v_readfirstlane_b32 s100, v75                              // 000000002870: 7EC8054B
	s_nop 3                                                    // 000000002874: BF800003
	s_load_dwordx2 s[4:5], s[0:1], 0x0                         // 000000002878: C0060100 00000000
	s_load_dwordx2 s[8:9], s[0:1], 0x10                        // 000000002880: C0060200 00000010
	s_load_dwordx2 s[12:13], s[0:1], 0x20                      // 000000002888: C0060300 00000020
	s_load_dwordx2 s[16:17], s[0:1], 0x30                      // 000000002890: C0060400 00000030
	s_load_dwordx2 s[20:21], s[0:1], 0x40                      // 000000002898: C0060500 00000040
	s_load_dwordx2 s[22:23], s[0:1], 0x50                      // 0000000028A0: C0060580 00000050
	s_load_dwordx2 s[24:25], s[0:1], 0x60                      // 0000000028A8: C0060600 00000060
	s_load_dwordx2 s[28:29], s[0:1], 0x70                      // 0000000028B0: C0060700 00000070
	s_load_dwordx2 s[32:33], s[0:1], 0xf0                      // 0000000028B8: C0060800 000000F0
	s_load_dwordx2 s[34:35], s[0:1], 0x100                     // 0000000028C0: C0060880 00000100
	s_load_dwordx2 s[40:41], s[0:1], 0x130                     // 0000000028C8: C0060A00 00000130
	s_load_dwordx2 s[44:45], s[0:1], 0x140                     // 0000000028D0: C0060B00 00000140
	v_mov_b32_e32 v100, 0xffff0000                             // 0000000028D8: 7EC802FF FFFF0000
	v_mov_b32_e32 v101, 0x7fff0000                             // 0000000028E0: 7ECA02FF 7FFF0000
	v_mov_b32_e32 v102, 0x7fff                                 // 0000000028E8: 7ECC02FF 00007FFF
	v_mov_b32_e32 v96, 0xff800000                              // 0000000028F0: 7EC002FF FF800000
	v_mov_b64_e32 v[94:95], 0                                  // 0000000028F8: 7EBC7080
	v_mov_b32_e32 v98, 0                                       // 0000000028FC: 7EC40280
	v_mov_b64_e32 v[70:71], 0                                  // 000000002900: 7E8C7080
	v_mov_b32_e32 v56, 0                                       // 000000002904: 7E700280
	v_mov_b32_e32 v48, 0                                       // 000000002908: 7E600280
	v_mov_b32_e32 v57, 0                                       // 00000000290C: 7E720280
	v_mov_b32_e32 v49, 0                                       // 000000002910: 7E620280
	v_mov_b32_e32 v58, 0                                       // 000000002914: 7E740280
	v_mov_b32_e32 v50, 0                                       // 000000002918: 7E640280
	v_mov_b32_e32 v59, 0                                       // 00000000291C: 7E760280
	v_mov_b32_e32 v51, 0                                       // 000000002920: 7E660280
	v_mov_b32_e32 v60, 0                                       // 000000002924: 7E780280
	v_mov_b32_e32 v52, 0                                       // 000000002928: 7E680280
	v_mov_b32_e32 v61, 0                                       // 00000000292C: 7E7A0280
	v_mov_b32_e32 v53, 0                                       // 000000002930: 7E6A0280
	v_mov_b32_e32 v62, 0                                       // 000000002934: 7E7C0280
	v_mov_b32_e32 v54, 0                                       // 000000002938: 7E6C0280
	v_mov_b32_e32 v63, 0                                       // 00000000293C: 7E7E0280
	v_mov_b32_e32 v55, 0                                       // 000000002940: 7E6E0280
	s_waitcnt lgkmcnt(0)                                       // 000000002944: BF8CC07F
	s_lshl_b32 s48, s92, 2                                     // 000000002948: 8E30825C
	s_and_b32 s23, s23, 0xffff                                 // 00000000294C: 8617FF17 0000FFFF
	s_add_u32 s22, s22, s48                                    // 000000002954: 80163016
	s_addc_u32 s23, s23, 0                                     // 000000002958: 82178017
	s_load_dword s65, s[22:23], 0x0                            // 00000000295C: C002104B 00000000
	s_lshl_b32 s48, s96, 2                                     // 000000002964: 8E308260
	s_and_b32 s21, s21, 0xffff                                 // 000000002968: 8615FF15 0000FFFF
	s_add_u32 s20, s20, s48                                    // 000000002970: 80143014
	s_addc_u32 s21, s21, 0                                     // 000000002974: 82158015
	s_load_dword s66, s[20:21], 0x0                            // 000000002978: C002108A 00000000
	s_mov_b32 s10, 0x80000000                                  // 000000002980: BE8A00FF 80000000
	s_mov_b32 s11, 0x20000                                     // 000000002988: BE8B00FF 00020000
	s_and_b32 s9, s9, 0xffff                                   // 000000002990: 8609FF09 0000FFFF
	s_or_b32 s9, s9, 0                                         // 000000002998: 87098009
	s_mov_b32 s6, 0x80000000                                   // 00000000299C: BE8600FF 80000000
	s_mov_b32 s7, 0x20000                                      // 0000000029A4: BE8700FF 00020000
	s_and_b32 s5, s5, 0xffff                                   // 0000000029AC: 8605FF05 0000FFFF
	s_or_b32 s5, s5, 0                                         // 0000000029B4: 87058005
	s_mul_i32 s74, s73, 0x100                                  // 0000000029B8: 924AFF49 00000100
	s_add_u32 s48, s72, 1                                      // 0000000029C0: 80308148
	s_mul_i32 s76, s60, s48                                    // 0000000029C4: 924C303C
	s_mul_i32 s48, s92, s76                                    // 0000000029C8: 92304C5C
	s_mul_i32 s49, s100, s74                                   // 0000000029CC: 92314A64
	s_add_u32 s48, s48, s49                                    // 0000000029D0: 80303130
	s_add_u32 s8, s8, s48                                      // 0000000029D4: 80083008
	s_addc_u32 s9, s9, 0                                       // 0000000029D8: 82098009
	s_mul_i32 s48, s72, s60                                    // 0000000029DC: 92303C48
	s_add_u32 s48, s48, s74                                    // 0000000029E0: 80304A30
	s_mov_b32 s10, s48                                         // 0000000029E4: BE8A0030
	s_mul_i32 s61, s59, s74                                    // 0000000029E8: 923D4A3B
	s_add_u32 s48, s72, 1                                      // 0000000029EC: 80308148
	s_mul_i32 s48, s48, s61                                    // 0000000029F0: 92303D30
	s_mul_i32 s48, s48, s92                                    // 0000000029F4: 92305C30
	s_mul_i32 s49, s100, s74                                   // 0000000029F8: 92314A64
	s_add_u32 s48, s48, s49                                    // 0000000029FC: 80303130
	s_add_u32 s4, s4, s48                                      // 000000002A00: 80043004
	s_addc_u32 s5, s5, 0                                       // 000000002A04: 82058005
	s_mul_i32 s48, s72, s61                                    // 000000002A08: 92303D48
	s_add_u32 s48, s48, s74                                    // 000000002A0C: 80304A30
	s_mov_b32 s6, s48                                          // 000000002A10: BE860030
	v_and_b32_e32 v84, 15, v0                                  // 000000002A14: 26A8008F
	v_lshlrev_b32_e32 v84, 4, v84                              // 000000002A18: 24A8A884
	s_lshl_b32 s48, s54, 2                                     // 000000002A1C: 8E308236
	v_lshrrev_b32_e32 v76, 4, v0                               // 000000002A20: 20980084
	v_add_u32_e32 v76, s48, v76                                // 000000002A24: 68989830
	v_cvt_f32_u32_e32 v72, s73                                 // 000000002A28: 7E900C49
	v_sub_i32 v80, 0, s73                                      // 000000002A2C: D29D0050 00009280
	v_rcp_iflag_f32_e32 v72, v72                               // 000000002A34: 7E904748
	s_nop 0                                                    // 000000002A38: BF800000
	v_mul_f32_e32 v72, 0x4f7ffffe, v72                         // 000000002A3C: 0A9090FF 4F7FFFFE
	v_cvt_u32_f32_e32 v72, v72                                 // 000000002A44: 7E900F48
	v_mul_lo_u32 v73, v80, v72                                 // 000000002A48: D2850049 00029150
	v_mul_hi_u32 v73, v72, v73                                 // 000000002A50: D2860049 00029348
	v_add_u32_e32 v72, v72, v73                                // 000000002A58: 68909348
	v_mul_hi_u32 v72, v76, v72                                 // 000000002A5C: D2860048 0002914C
	v_mul_lo_u32 v73, v72, s73                                 // 000000002A64: D2850049 00009348
	v_sub_u32_e32 v75, v76, v73                                // 000000002A6C: 6A96934C
	v_add_u32_e32 v74, 1, v72                                  // 000000002A70: 68949081
	v_cmp_le_u32_e32 vcc, s73, v75                             // 000000002A74: 7D969649
	v_subrev_u32_e32 v73, s73, v75                             // 000000002A78: 6C929649
	s_nop 0                                                    // 000000002A7C: BF800000
	v_cndmask_b32_e32 v72, v72, v74, vcc                       // 000000002A80: 00909548
	v_cndmask_b32_e32 v75, v75, v73, vcc                       // 000000002A84: 0096934B
	v_add_u32_e32 v73, 1, v72                                  // 000000002A88: 68929081
	v_cmp_le_u32_e32 vcc, s73, v75                             // 000000002A8C: 7D969649
	s_nop 1                                                    // 000000002A90: BF800001
	v_cndmask_b32_e32 v80, v72, v73, vcc                       // 000000002A94: 00A09348
	v_mul_i32_i24_e32 v74, s73, v80                            // 000000002A98: 0C94A049
	v_sub_u32_e32 v74, v76, v74                                // 000000002A9C: 6A94954C
	v_mul_u32_u24_e32 v74, 0x100, v74                          // 000000002AA0: 109494FF 00000100
	v_mul_u32_u24_e32 v106, s60, v80                           // 000000002AA8: 10D4A03C
	v_add3_u32 v106, v74, v106, v84                            // 000000002AAC: D1FF006A 0552D54A
	v_mul_u32_u24_e32 v107, s61, v80                           // 000000002AB4: 10D6A03D
	v_add3_u32 v107, v74, v107, v84                            // 000000002AB8: D1FF006B 0552D74A
	s_lshl_b32 s48, s54, 4                                     // 000000002AC0: 8E308436
	v_and_b32_e32 v72, 15, v0                                  // 000000002AC4: 2690008F
	v_mul_i32_i24_e32 v72, 0x50, v72                           // 000000002AC8: 0C9090FF 00000050
	v_lshrrev_b32_e32 v73, 4, v0                               // 000000002AD0: 20920084
	v_lshlrev_b32_e32 v73, 2, v73                              // 000000002AD4: 24929282
	v_add3_u32 v118, v72, v73, s48                             // 000000002AD8: D1FF0076 00C29348
	v_and_b32_e32 v119, 15, v0                                 // 000000002AE0: 26EE008F
	v_lshlrev_b32_e32 v119, 2, v119                            // 000000002AE4: 24EEEE82
	s_mul_i32 s48, s54, 0x240                                  // 000000002AE8: 9230FF36 00000240
	v_lshrrev_b32_e32 v72, 4, v0                               // 000000002AF0: 20900084
	v_lshlrev_b32_e32 v72, 7, v72                              // 000000002AF4: 24909087
	v_lshrrev_b32_e32 v73, 5, v0                               // 000000002AF8: 20920085
	v_lshlrev_b32_e32 v73, 5, v73                              // 000000002AFC: 24929285
	v_and_b32_e32 v74, 15, v0                                  // 000000002B00: 2694008F
	v_lshlrev_b32_e32 v74, 3, v74                              // 000000002B04: 24949483
	v_add3_u32 v72, v72, v73, v74                              // 000000002B08: D1FF0048 052A9348
	v_add_u32_e32 v120, s48, v72                               // 000000002B10: 68F09030
	v_and_b32_e32 v72, 15, v0                                  // 000000002B14: 2690008F
	v_lshlrev_b32_e32 v73, 7, v72                              // 000000002B18: 24929087
	v_lshrrev_b32_e32 v72, 1, v72                              // 000000002B1C: 20909081
	v_lshlrev_b32_e32 v72, 5, v72                              // 000000002B20: 24909085
	v_lshrrev_b32_e32 v74, 4, v0                               // 000000002B24: 20940084
	v_lshlrev_b32_e32 v74, 4, v74                              // 000000002B28: 24949484
	v_add3_u32 v121, v72, v73, v74                             // 000000002B2C: D1FF0079 052A9348
	s_mul_i32 s48, s54, 0x240                                  // 000000002B34: 9230FF36 00000240
	v_lshrrev_b32_e32 v72, 5, v0                               // 000000002B3C: 20900085
	v_mul_i32_i24_e32 v72, 0x120, v72                          // 000000002B40: 0C9090FF 00000120
	v_lshrrev_b32_e32 v73, 4, v0                               // 000000002B48: 20920084
	v_and_b32_e32 v73, 1, v73                                  // 000000002B4C: 26929281
	v_lshlrev_b32_e32 v73, 3, v73                              // 000000002B50: 24929283
	v_and_b32_e32 v74, 15, v0                                  // 000000002B54: 2694008F
	v_lshlrev_b32_e32 v74, 4, v74                              // 000000002B58: 24949484
	v_add3_u32 v122, v72, v73, v74                             // 000000002B5C: D1FF007A 052A9348
	v_add_u32_e32 v122, s48, v122                              // 000000002B64: 68F4F430
	s_lshl_b32 s48, s54, 6                                     // 000000002B68: 8E308636
	v_lshrrev_b32_e32 v72, 4, v0                               // 000000002B6C: 20900084
	v_lshlrev_b32_e32 v72, 4, v72                              // 000000002B70: 24909084
	v_and_b32_e32 v73, 15, v0                                  // 000000002B74: 2692008F
	v_mul_i32_i24_e32 v73, 0x120, v73                          // 000000002B78: 0C9292FF 00000120
	v_add3_u32 v123, v72, v73, s48                             // 000000002B80: D1FF007B 00C29348
	buffer_load_dwordx4 v[4:7], v106, s[8:11], 0 offen         // 000000002B88: E05C1000 8002046A
	s_mov_b32 s42, 0x80000000                                  // 000000002B90: BEAA00FF 80000000
	s_mov_b32 s43, 0x20000                                     // 000000002B98: BEAB00FF 00020000
	s_and_b32 s41, s41, 0xffff                                 // 000000002BA0: 8629FF29 0000FFFF
	s_or_b32 s41, s41, 0                                       // 000000002BA8: 87298029
	s_mov_b32 s46, 0x80000000                                  // 000000002BAC: BEAE00FF 80000000
	s_mov_b32 s47, 0x20000                                     // 000000002BB4: BEAF00FF 00020000
	s_and_b32 s45, s45, 0xffff                                 // 000000002BBC: 862DFF2D 0000FFFF
	s_or_b32 s45, s45, 0                                       // 000000002BC4: 872D802D
	s_lshl_b32 s74, s73, 2                                     // 000000002BC8: 8E4A8249
	s_mul_i32 s74, s59, s74                                    // 000000002BCC: 924A4A3B
	s_add_u32 s49, s72, 1                                      // 000000002BD0: 80318148
	s_mul_i32 s49, s49, s74                                    // 000000002BD4: 92314A31
	s_mov_b32 s46, s49                                         // 000000002BD8: BEAE0031
	s_mul_i32 s49, s49, 0x80                                   // 000000002BDC: 9231FF31 00000080
	s_mov_b32 s42, s49                                         // 000000002BE4: BEAA0031
	s_mul_i32 s48, s93, s74                                    // 000000002BE8: 92304A5D
	s_add_u32 s44, s44, s48                                    // 000000002BEC: 802C302C
	s_addc_u32 s45, s45, 0                                     // 000000002BF0: 822D802D
	s_mul_i32 s48, s48, 0x80                                   // 000000002BF4: 9230FF30 00000080
	s_add_u32 s40, s40, s48                                    // 000000002BFC: 80283028
	s_addc_u32 s41, s41, 0                                     // 000000002C00: 82298029
	s_lshl_b32 s48, s54, 6                                     // 000000002C04: 8E308636
	v_lshrrev_b32_e32 v84, 4, v0                               // 000000002C08: 20A80084
	v_lshlrev_b32_e32 v84, 4, v84                              // 000000002C0C: 24A8A884
	v_add_u32_e32 v84, s48, v84                                // 000000002C10: 68A8A830
	v_and_b32_e32 v76, 15, v0                                  // 000000002C14: 2698008F
	v_cvt_f32_u32_e32 v72, s73                                 // 000000002C18: 7E900C49
	v_sub_i32 v80, 0, s73                                      // 000000002C1C: D29D0050 00009280
	v_rcp_iflag_f32_e32 v72, v72                               // 000000002C24: 7E904748
	s_nop 0                                                    // 000000002C28: BF800000
	v_mul_f32_e32 v72, 0x4f7ffffe, v72                         // 000000002C2C: 0A9090FF 4F7FFFFE
	v_cvt_u32_f32_e32 v72, v72                                 // 000000002C34: 7E900F48
	v_mul_lo_u32 v73, v80, v72                                 // 000000002C38: D2850049 00029150
	v_mul_hi_u32 v73, v72, v73                                 // 000000002C40: D2860049 00029348
	v_add_u32_e32 v72, v72, v73                                // 000000002C48: 68909348
	v_mul_hi_u32 v72, v76, v72                                 // 000000002C4C: D2860048 0002914C
	v_mul_lo_u32 v73, v72, s73                                 // 000000002C54: D2850049 00009348
	v_sub_u32_e32 v75, v76, v73                                // 000000002C5C: 6A96934C
	v_add_u32_e32 v74, 1, v72                                  // 000000002C60: 68949081
	v_cmp_le_u32_e32 vcc, s73, v75                             // 000000002C64: 7D969649
	v_subrev_u32_e32 v73, s73, v75                             // 000000002C68: 6C929649
	s_nop 0                                                    // 000000002C6C: BF800000
	v_cndmask_b32_e32 v72, v72, v74, vcc                       // 000000002C70: 00909548
	v_cndmask_b32_e32 v75, v75, v73, vcc                       // 000000002C74: 0096934B
	v_add_u32_e32 v73, 1, v72                                  // 000000002C78: 68929081
	v_cmp_le_u32_e32 vcc, s73, v75                             // 000000002C7C: 7D969649
	s_nop 1                                                    // 000000002C80: BF800001
	v_cndmask_b32_e32 v80, v72, v73, vcc                       // 000000002C84: 00A09348
	v_mul_i32_i24_e32 v74, s73, v80                            // 000000002C88: 0C94A049
	v_sub_u32_e32 v74, v76, v74                                // 000000002C8C: 6A94954C
	v_lshlrev_b32_e32 v74, 2, v74                              // 000000002C90: 24949482
	v_mul_u32_u24_e32 v72, s59, v80                            // 000000002C94: 1090A03B
	v_mul_u32_u24_e32 v72, s73, v72                            // 000000002C98: 10909049
	v_lshlrev_b32_e32 v72, 2, v72                              // 000000002C9C: 24909082
	v_add_u32_e32 v74, v74, v72                                // 000000002CA0: 6894914A
	v_add_u32_e32 v117, v74, v72                               // 000000002CA4: 68EA914A
	v_mul_u32_u24_e32 v74, 0x80, v74                           // 000000002CA8: 109494FF 00000080
	v_add_u32_e32 v116, v74, v84                               // 000000002CB0: 68E8A94A
	s_mov_b32 s14, 0x80000000                                  // 000000002CB4: BE8E00FF 80000000
	s_mov_b32 s15, 0x20000                                     // 000000002CBC: BE8F00FF 00020000
	s_and_b32 s13, s13, 0xffff                                 // 000000002CC4: 860DFF0D 0000FFFF
	s_or_b32 s13, s13, 0                                       // 000000002CCC: 870D800D
	s_mul_i32 s48, s100, s63                                   // 000000002CD0: 92303F64
	s_mul_i32 s49, s54, 0x100                                  // 000000002CD4: 9231FF36 00000100
	s_add_u32 s49, s48, s49                                    // 000000002CDC: 80313130
	s_add_u32 s78, s12, s49                                    // 000000002CE0: 804E310C
	s_addc_u32 s79, s13, 0                                     // 000000002CE4: 824F800D
	s_mov_b32 s18, 0x80000000                                  // 000000002CE8: BE9200FF 80000000
	s_mov_b32 s19, 0x20000                                     // 000000002CF0: BE9300FF 00020000
	s_and_b32 s17, s17, 0xffff                                 // 000000002CF8: 8611FF11 0000FFFF
	s_or_b32 s17, s17, 0                                       // 000000002D00: 87118011
	s_add_u32 s80, s16, s49                                    // 000000002D04: 80503110
	s_addc_u32 s81, s17, 0                                     // 000000002D08: 82518011
	s_mov_b32 s26, 0x80000000                                  // 000000002D0C: BE9A00FF 80000000
	s_mov_b32 s27, 0x20000                                     // 000000002D14: BE9B00FF 00020000
	s_and_b32 s25, s25, 0xffff                                 // 000000002D1C: 8619FF19 0000FFFF
	s_or_b32 s25, s25, 0                                       // 000000002D24: 87198019
	s_mul_i32 s48, s100, 0x1000                                // 000000002D28: 9230FF64 00001000
	s_mul_i32 s49, s54, 64                                     // 000000002D30: 9231C036
	s_add_u32 s49, s48, s49                                    // 000000002D34: 80313130
	s_add_u32 s82, s24, s49                                    // 000000002D38: 80523118
	s_addc_u32 s83, s25, 0                                     // 000000002D3C: 82538019
	s_mov_b32 s30, 0x80000000                                  // 000000002D40: BE9E00FF 80000000
	s_mov_b32 s31, 0x20000                                     // 000000002D48: BE9F00FF 00020000
	s_and_b32 s29, s29, 0xffff                                 // 000000002D50: 861DFF1D 0000FFFF
	s_or_b32 s29, s29, 0                                       // 000000002D58: 871D801D
	s_add_u32 s84, s28, s49                                    // 000000002D5C: 8054311C
	s_addc_u32 s85, s29, 0                                     // 000000002D60: 8255801D
	v_lshrrev_b32_e32 v72, 4, v0                               // 000000002D64: 20900084
	v_and_b32_e32 v73, 15, v0                                  // 000000002D68: 2692008F
	v_lshlrev_b32_e32 v74, 4, v73                              // 000000002D6C: 24949284
	v_mul_i32_i24_e32 v108, 0x4000, v72                        // 000000002D70: 0CD890FF 00004000
	v_add_u32_e32 v108, v74, v108                              // 000000002D78: 68D8D94A
	v_add_u32_e32 v109, 0x10000, v108                          // 000000002D7C: 68DAD8FF 00010000
	v_mul_i32_i24_e32 v110, 0x800, v72                         // 000000002D84: 0CDC90FF 00000800
	v_add_u32_e32 v110, v74, v110                              // 000000002D8C: 68DCDD4A
	v_add_u32_e32 v111, 0x2000, v110                           // 000000002D90: 68DEDCFF 00002000
	v_add_u32_e32 v112, 0x2000, v111                           // 000000002D98: 68E0DEFF 00002000
	v_add_u32_e32 v113, 0x2000, v112                           // 000000002DA0: 68E2E0FF 00002000
	v_lshlrev_b32_e32 v72, 2, v72                              // 000000002DA8: 24909082
	v_lshrrev_b32_e32 v73, 2, v73                              // 000000002DAC: 20929282
	v_lshlrev_b32_e32 v73, 6, v73                              // 000000002DB0: 24929286
	v_and_b32_e32 v74, 3, v0                                   // 000000002DB4: 26940083
	v_add3_u32 v72, v72, v73, v74                              // 000000002DB8: D1FF0048 052A9348
	v_lshlrev_b32_e32 v114, 2, v72                             // 000000002DC0: 24E49082
	v_mov_b32_e32 v115, v114                                   // 000000002DC4: 7EE60372
	s_waitcnt lgkmcnt(0)                                       // 000000002DC8: BF8CC07F
	s_mul_i32 s69, s66, s62                                    // 000000002DCC: 92453E42
	s_mov_b32 s70, s69                                         // 000000002DD0: BEC60045
	s_mul_i32 s64, 0x1000, s59                                 // 000000002DD4: 92403BFF 00001000
	s_mul_i32 s71, s66, s64                                    // 000000002DDC: 92474042
	s_add_u32 s12, s78, s69                                    // 000000002DE0: 800C454E
	s_addc_u32 s13, s79, 0                                     // 000000002DE4: 820D804F
	s_add_u32 s16, s80, s70                                    // 000000002DE8: 80104650
	s_addc_u32 s17, s81, 0                                     // 000000002DEC: 82118051
	s_add_u32 s24, s82, s71                                    // 000000002DF0: 80184752
	s_addc_u32 s25, s83, 0                                     // 000000002DF4: 82198053
	s_add_u32 s28, s84, s71                                    // 000000002DF8: 801C4754
	s_addc_u32 s29, s85, 0                                     // 000000002DFC: 821D8055
	s_add_u32 s69, s69, 0x1000                                 // 000000002E00: 8045FF45 00001000
	s_add_u32 s70, s70, 0x8000                                 // 000000002E08: 8046FF46 00008000
	s_add_u32 s71, s71, 0x400                                  // 000000002E10: 8047FF47 00000400
	buffer_load_dwordx4 a[0:3], v108, s[12:15], 0 offen        // 000000002E18: E05C1000 8083006C
	buffer_load_dwordx4 a[4:7], v109, s[12:15], 0 offen        // 000000002E20: E05C1000 8083046D
	buffer_load_dwordx4 a[8:11], v108, s[12:15], 0 offen offset:1024// 000000002E28: E05C1400 8083086C
	buffer_load_dwordx4 a[12:15], v109, s[12:15], 0 offen offset:1024// 000000002E30: E05C1400 80830C6D
	buffer_load_dwordx4 a[16:19], v108, s[12:15], 0 offen offset:2048// 000000002E38: E05C1800 8083106C
	buffer_load_dwordx4 a[20:23], v109, s[12:15], 0 offen offset:2048// 000000002E40: E05C1800 8083146D
	buffer_load_dwordx4 a[24:27], v108, s[12:15], 0 offen offset:3072// 000000002E48: E05C1C00 8083186C
	buffer_load_dwordx4 a[28:31], v109, s[12:15], 0 offen offset:3072// 000000002E50: E05C1C00 80831C6D
	buffer_load_dword v66, v114, s[24:27], 0 offen             // 000000002E58: E0501000 80064272
	buffer_load_dword v68, v115, s[28:31], 0 offen             // 000000002E60: E0501000 80074473
	buffer_load_dwordx4 a[64:67], v110, s[16:19], 0 offen      // 000000002E68: E05C1000 8084406E
	buffer_load_dwordx4 a[68:71], v111, s[16:19], 0 offen      // 000000002E70: E05C1000 8084446F
	buffer_load_dwordx4 a[72:75], v112, s[16:19], 0 offen      // 000000002E78: E05C1000 80844870
	buffer_load_dwordx4 a[76:79], v113, s[16:19], 0 offen      // 000000002E80: E05C1000 80844C71
	buffer_load_dwordx4 a[80:83], v110, s[16:19], 0 offen offset:1024// 000000002E88: E05C1400 8084506E
	buffer_load_dwordx4 a[84:87], v111, s[16:19], 0 offen offset:1024// 000000002E90: E05C1400 8084546F
	buffer_load_dwordx4 a[88:91], v112, s[16:19], 0 offen offset:1024// 000000002E98: E05C1400 80845870
	buffer_load_dwordx4 a[92:95], v113, s[16:19], 0 offen offset:1024// 000000002EA0: E05C1400 80845C71
	s_lshl_b32 s48, s54, 6                                     // 000000002EA8: 8E308636
	v_add_u32_e32 v124, s48, v0                                // 000000002EAC: 68F80030
	v_lshlrev_b32_e32 v124, 2, v124                            // 000000002EB0: 24F8F882
	v_and_b32_e32 v125, 15, v0                                 // 000000002EB4: 26FA008F
	v_lshlrev_b32_e32 v125, 2, v125                            // 000000002EB8: 24FAFA82
	s_lshl_b32 s48, s54, 8                                     // 000000002EBC: 8E308836
	v_and_b32_e32 v73, 15, v0                                  // 000000002EC0: 2692008F
	v_lshlrev_b32_e32 v73, 4, v73                              // 000000002EC4: 24929284
	v_lshrrev_b32_e32 v74, 4, v0                               // 000000002EC8: 20940084
	v_lshlrev_b32_e32 v74, 2, v74                              // 000000002ECC: 24949482
	v_add3_u32 v126, v73, v74, s48                             // 000000002ED0: D1FF007E 00C29549
	v_and_b32_e32 v72, 15, v0                                  // 000000002ED8: 2690008F
	v_lshlrev_b32_e32 v72, 4, v72                              // 000000002EDC: 24909084
	v_lshrrev_b32_e32 v73, 4, v0                               // 000000002EE0: 20920084
	v_lshlrev_b32_e32 v73, 8, v73                              // 000000002EE4: 24929288
	v_add_u32_e32 v127, v72, v73                               // 000000002EE8: 68FE9348
	s_lshl_b32 s48, s54, 4                                     // 000000002EEC: 8E308436
	v_lshrrev_b32_e32 v104, 4, v0                              // 000000002EF0: 20D00084
	v_lshlrev_b32_e32 v104, 2, v104                            // 000000002EF4: 24D0D082
	v_add_u32_e32 v104, s48, v104                              // 000000002EF8: 68D0D030
	s_sub_i32 s49, s97, s101                                   // 000000002EFC: 81B16561
	s_mul_i32 s49, s49, 0x400                                  // 000000002F00: 9231FF31 00000400
	s_min_i32 s74, s65, s49                                    // 000000002F08: 834A3141
	s_sub_i32 s48, s65, s72                                    // 000000002F0C: 81B04841
	v_and_b32_e32 v76, 15, v0                                  // 000000002F10: 2698008F
	v_cvt_f32_u32_e32 v72, s73                                 // 000000002F14: 7E900C49
	v_sub_i32 v77, 0, s73                                      // 000000002F18: D29D004D 00009280
	v_rcp_iflag_f32_e32 v72, v72                               // 000000002F20: 7E904748
	s_nop 0                                                    // 000000002F24: BF800000
	v_mul_f32_e32 v72, 0x4f7ffffe, v72                         // 000000002F28: 0A9090FF 4F7FFFFE
	v_cvt_u32_f32_e32 v72, v72                                 // 000000002F30: 7E900F48
	v_mul_lo_u32 v73, v77, v72                                 // 000000002F34: D2850049 0002914D
	v_mul_hi_u32 v73, v72, v73                                 // 000000002F3C: D2860049 00029348
	v_add_u32_e32 v72, v72, v73                                // 000000002F44: 68909348
	v_mul_hi_u32 v72, v76, v72                                 // 000000002F48: D2860048 0002914C
	v_mul_lo_u32 v73, v72, s73                                 // 000000002F50: D2850049 00009348
	v_sub_u32_e32 v75, v76, v73                                // 000000002F58: 6A96934C
	v_add_u32_e32 v74, 1, v72                                  // 000000002F5C: 68949081
	v_cmp_le_u32_e32 vcc, s73, v75                             // 000000002F60: 7D969649
	v_subrev_u32_e32 v73, s73, v75                             // 000000002F64: 6C929649
	s_nop 0                                                    // 000000002F68: BF800000
	v_cndmask_b32_e32 v72, v72, v74, vcc                       // 000000002F6C: 00909548
	v_cndmask_b32_e32 v75, v75, v73, vcc                       // 000000002F70: 0096934B
	v_add_u32_e32 v73, 1, v72                                  // 000000002F74: 68929081
	v_cmp_le_u32_e32 vcc, s73, v75                             // 000000002F78: 7D969649
	s_nop 1                                                    // 000000002F7C: BF800001
	v_cndmask_b32_e32 v77, v72, v73, vcc                       // 000000002F80: 009A9348
	v_add_u32_e32 v103, s48, v77                               // 000000002F84: 68CE9A30
	v_min_i32_e32 v103, s74, v103                              // 000000002F88: 18CECE4A
	s_waitcnt vmcnt(18)                                        // 000000002F8C: BF8C4F72
	v_lshlrev_b32_e32 v8, 16, v4                               // 000000002F90: 24100890
	v_and_b32_e32 v9, 0xffff0000, v4                           // 000000002F94: 261208FF FFFF0000
	v_lshlrev_b32_e32 v10, 16, v5                              // 000000002F9C: 24140A90
	v_and_b32_e32 v11, 0xffff0000, v5                          // 000000002FA0: 26160AFF FFFF0000
	v_lshlrev_b32_e32 v12, 16, v6                              // 000000002FA8: 24180C90
	v_and_b32_e32 v13, 0xffff0000, v6                          // 000000002FAC: 261A0CFF FFFF0000
	v_lshlrev_b32_e32 v14, 16, v7                              // 000000002FB4: 241C0E90
	v_and_b32_e32 v15, 0xffff0000, v7                          // 000000002FB8: 261E0EFF FFFF0000
	v_mov_b32_e32 v92, 0x358637bd                              // 000000002FC0: 7EB802FF 358637BD
	v_max3_f32 v92, |v8|, |v9|, v92                            // 000000002FC8: D1D3035C 05721308
	v_max3_f32 v92, |v10|, |v11|, v92                          // 000000002FD0: D1D3035C 0572170A
	v_max3_f32 v92, |v12|, |v13|, v92                          // 000000002FD8: D1D3035C 05721B0C
	v_max3_f32 v92, |v14|, |v15|, v92                          // 000000002FE0: D1D3035C 05721F0E
	ds_write_b32 v118, v92 offset:1280                         // 000000002FE8: D81A0500 00005C76
	s_waitcnt lgkmcnt(0)                                       // 000000002FF0: BF8CC07F
	s_barrier                                                  // 000000002FF4: BF8A0000
	ds_read_b32 v76, v119 offset:1280                          // 000000002FF8: D86C0500 4C000077
	ds_read_b32 v77, v119 offset:1360                          // 000000003000: D86C0550 4D000077
	ds_read_b32 v78, v119 offset:1440                          // 000000003008: D86C05A0 4E000077
	ds_read_b32 v79, v119 offset:1520                          // 000000003010: D86C05F0 4F000077
	ds_read_b32 v80, v119 offset:1600                          // 000000003018: D86C0640 50000077
	ds_read_b32 v81, v119 offset:1680                          // 000000003020: D86C0690 51000077
	ds_read_b32 v82, v119 offset:1760                          // 000000003028: D86C06E0 52000077
	ds_read_b32 v83, v119 offset:1840                          // 000000003030: D86C0730 53000077
	ds_read_b32 v84, v119 offset:1920                          // 000000003038: D86C0780 54000077
	ds_read_b32 v85, v119 offset:2000                          // 000000003040: D86C07D0 55000077
	ds_read_b32 v86, v119 offset:2080                          // 000000003048: D86C0820 56000077
	ds_read_b32 v87, v119 offset:2160                          // 000000003050: D86C0870 57000077
	ds_read_b32 v88, v119 offset:2240                          // 000000003058: D86C08C0 58000077
	ds_read_b32 v89, v119 offset:2320                          // 000000003060: D86C0910 59000077
	ds_read_b32 v90, v119 offset:2400                          // 000000003068: D86C0960 5A000077
	ds_read_b32 v91, v119 offset:2480                          // 000000003070: D86C09B0 5B000077
	s_waitcnt lgkmcnt(0)                                       // 000000003078: BF8CC07F
	v_mov_b32_e32 v92, 0x358637bd                              // 00000000307C: 7EB802FF 358637BD
	v_max3_f32 v92, v76, v77, v92                              // 000000003084: D1D3005C 05729B4C
	v_max3_f32 v92, v78, v79, v92                              // 00000000308C: D1D3005C 05729F4E
	v_max3_f32 v92, v80, v81, v92                              // 000000003094: D1D3005C 0572A350
	v_max3_f32 v92, v82, v83, v92                              // 00000000309C: D1D3005C 0572A752
	v_max3_f32 v92, v84, v85, v92                              // 0000000030A4: D1D3005C 0572AB54
	v_max3_f32 v92, v86, v87, v92                              // 0000000030AC: D1D3005C 0572AF56
	v_max3_f32 v92, v88, v89, v92                              // 0000000030B4: D1D3005C 0572B358
	v_max3_f32 v92, v90, v91, v92                              // 0000000030BC: D1D3005C 0572B75A
	v_rcp_f32_e32 v92, v92                                     // 0000000030C4: 7EB8455C
	s_lshl_b32 s48, s54, 2                                     // 0000000030C8: 8E308236
	v_lshrrev_b32_e32 v74, 4, v0                               // 0000000030CC: 20940084
	v_add_u32_e32 v74, s48, v74                                // 0000000030D0: 68949430
	v_lshlrev_b32_e32 v74, 2, v74                              // 0000000030D4: 24949482
	v_mul_f32_e32 v92, 0x43700000, v92                         // 0000000030D8: 0AB8B8FF 43700000
	ds_bpermute_b32 v72, v74, v92                              // 0000000030E0: D87E0000 48005C4A
	s_waitcnt lgkmcnt(0)                                       // 0000000030E8: BF8CC07F
	v_mul_f32_e32 v8, v8, v72                                  // 0000000030EC: 0A109108
	v_mul_f32_e32 v9, v9, v72                                  // 0000000030F0: 0A129109
	v_mul_f32_e32 v10, v10, v72                                // 0000000030F4: 0A14910A
	v_mul_f32_e32 v11, v11, v72                                // 0000000030F8: 0A16910B
	v_mul_f32_e32 v12, v12, v72                                // 0000000030FC: 0A18910C
	v_mul_f32_e32 v13, v13, v72                                // 000000003100: 0A1A910D
	v_mul_f32_e32 v14, v14, v72                                // 000000003104: 0A1C910E
	v_mul_f32_e32 v15, v15, v72                                // 000000003108: 0A1E910F
	v_cvt_pk_fp8_f32 v8, v8, v9                                // 00000000310C: D2A20008 00021308
	v_cvt_pk_fp8_f32 v8, v10, v11 op_sel:[0,0,1]               // 000000003114: D2A24008 0002170A
	v_cvt_pk_fp8_f32 v9, v12, v13                              // 00000000311C: D2A20009 00021B0C
	v_cvt_pk_fp8_f32 v9, v14, v15 op_sel:[0,0,1]               // 000000003124: D2A24009 00021F0E
	ds_write_b64 v120, v[8:9] offset:2560                      // 00000000312C: D89A0A00 00000878
	v_rcp_f32_e32 v64, v92                                     // 000000003134: 7E80455C
	s_nop 0                                                    // 000000003138: BF800000
	v_mov_b32_e32 v65, v64                                     // 00000000313C: 7E820340
	s_waitcnt lgkmcnt(0)                                       // 000000003140: BF8CC07F
	s_barrier                                                  // 000000003144: BF8A0000
	ds_read_b128 v[8:11], v121 offset:2560                     // 000000003148: D9FE0A00 08000079
	ds_read_b128 v[12:15], v121 offset:2624                    // 000000003150: D9FE0A40 0C000079
	s_mov_b32 s88, s58                                         // 000000003158: BED8003A
	s_mov_b32 s89, s58                                         // 00000000315C: BED9003A
	s_lshl_b32 s48, s92, 2                                     // 000000003160: 8E30825C
	s_and_b32 s35, s35, 0xffff                                 // 000000003164: 8623FF23 0000FFFF
	s_add_u32 s34, s34, s48                                    // 00000000316C: 80223022
	s_addc_u32 s35, s35, 0                                     // 000000003170: 82238023
	s_load_dword s101, s[34:35], 0x0                           // 000000003174: C0021951 00000000
	s_waitcnt lgkmcnt(0)                                       // 00000000317C: BF8CC07F
	s_sub_i32 s49, s97, s101                                   // 000000003180: 81B16561
	s_mul_i32 s49, s49, 0x400                                  // 000000003184: 9231FF31 00000400
	s_min_i32 s74, s65, s49                                    // 00000000318C: 834A3141
	s_sub_i32 s75, s74, 0x100                                  // 000000003190: 81CBFF4A 00000100
	s_sub_i32 s48, s65, s72                                    // 000000003198: 81B04841
	s_sub_i32 s74, s49, 1                                      // 00000000319C: 81CA8131
	s_min_i32 s48, s48, s74                                    // 0000000031A0: 83304A30
	s_and_b32 s57, s48, 0xffffff00                             // 0000000031A4: 8639FF30 FFFFFF00
	s_sub_i32 s48, s96, s101                                   // 0000000031AC: 81B06560
	s_mul_i32 s48, s48, 0x400                                  // 0000000031B0: 9230FF30 00000400
	s_mov_b32 s56, s48                                         // 0000000031B8: BEB80030
	s_mov_b32 s67, s96                                         // 0000000031BC: BEC30060
	s_waitcnt lgkmcnt(0)                                       // 0000000031C0: BF8CC07F
	s_cmp_lt_i32 s54, 2                                        // 0000000031C4: BF048236
	s_cbranch_scc0 label_0A64                                  // 0000000031C8: BF8407B1

00000000000031cc <label_02B3>:
	s_cmp_lt_i32 s56, s57                                      // 0000000031CC: BF043938
	s_cbranch_scc0 label_1215                                  // 0000000031D0: BF840F60
	s_waitcnt vmcnt(10)                                        // 0000000031D4: BF8C0F7A
	v_mfma_f32_16x16x32_fp8_fp8 v[16:19], a[0:1], v[8:9], 0    // 0000000031D8: D3F30010 0A021100
	s_add_u32 s12, s78, s69                                    // 0000000031E0: 800C454E
	s_addc_u32 s13, s79, 0                                     // 0000000031E4: 820D804F
	v_mfma_f32_16x16x32_fp8_fp8 v[16:19], a[2:3], v[10:11], v[16:19]// 0000000031E8: D3F30010 0C421502
	buffer_load_dwordx4 a[32:35], v108, s[12:15], 0 offen      // 0000000031F0: E05C1000 8083206C
	v_mfma_f32_16x16x32_fp8_fp8 v[16:19], a[4:5], v[12:13], v[16:19]// 0000000031F8: D3F30010 0C421904
	s_add_u32 s16, s80, s70                                    // 000000003200: 80104650
	s_addc_u32 s17, s81, 0                                     // 000000003204: 82118051
	v_mfma_f32_16x16x32_fp8_fp8 v[16:19], a[6:7], v[14:15], v[16:19]// 000000003208: D3F30010 0C421D06
	s_add_u32 s24, s82, s71                                    // 000000003210: 80184752
	s_addc_u32 s25, s83, 0                                     // 000000003214: 82198053
	v_mfma_f32_16x16x32_fp8_fp8 v[20:23], a[8:9], v[8:9], 0    // 000000003218: D3F30014 0A021108
	s_add_u32 s28, s84, s71                                    // 000000003220: 801C4754
	s_addc_u32 s29, s85, 0                                     // 000000003224: 821D8055
	v_mfma_f32_16x16x32_fp8_fp8 v[20:23], a[10:11], v[10:11], v[20:23]// 000000003228: D3F30014 0C52150A
	buffer_load_dwordx4 a[36:39], v109, s[12:15], 0 offen      // 000000003230: E05C1000 8083246D
	v_mfma_f32_16x16x32_fp8_fp8 v[20:23], a[12:13], v[12:13], v[20:23]// 000000003238: D3F30014 0C52190C
	s_add_u32 s69, s69, 0x1000                                 // 000000003240: 8045FF45 00001000
	s_add_u32 s70, s70, 0x8000                                 // 000000003248: 8046FF46 00008000
	v_mfma_f32_16x16x32_fp8_fp8 v[20:23], a[14:15], v[14:15], v[20:23]// 000000003250: D3F30014 0C521D0E
	s_add_u32 s71, s71, 0x400                                  // 000000003258: 8047FF47 00000400
	v_mfma_f32_16x16x32_fp8_fp8 v[24:27], a[16:17], v[8:9], 0  // 000000003260: D3F30018 0A021110
	v_mfma_f32_16x16x32_fp8_fp8 v[24:27], a[18:19], v[10:11], v[24:27]// 000000003268: D3F30018 0C621512
	buffer_load_dwordx4 a[40:43], v108, s[12:15], 0 offen offset:1024// 000000003270: E05C1400 8083286C
	v_mfma_f32_16x16x32_fp8_fp8 v[24:27], a[20:21], v[12:13], v[24:27]// 000000003278: D3F30018 0C621914
	v_mfma_f32_16x16x32_fp8_fp8 v[24:27], a[22:23], v[14:15], v[24:27]// 000000003280: D3F30018 0C621D16
	v_mfma_f32_16x16x32_fp8_fp8 v[28:31], a[24:25], v[8:9], 0  // 000000003288: D3F3001C 0A021118
	v_mfma_f32_16x16x32_fp8_fp8 v[28:31], a[26:27], v[10:11], v[28:31]// 000000003290: D3F3001C 0C72151A
	buffer_load_dwordx4 a[44:47], v109, s[12:15], 0 offen offset:1024// 000000003298: E05C1400 80832C6D
	v_mfma_f32_16x16x32_fp8_fp8 v[28:31], a[28:29], v[12:13], v[28:31]// 0000000032A0: D3F3001C 0C72191C
	v_mfma_f32_16x16x32_fp8_fp8 v[28:31], a[30:31], v[14:15], v[28:31]// 0000000032A8: D3F3001C 0C721D1E
	s_waitcnt vmcnt(12)                                        // 0000000032B0: BF8C0F7C
	v_pk_mul_f32 v[16:17], v[64:65], v[16:17]                  // 0000000032B4: D3B14010 18022140
	v_pk_mul_f32 v[18:19], v[64:65], v[18:19]                  // 0000000032BC: D3B14012 18022540
	v_mul_f32_dpp v16, v66, v16 row_newbcast:0 row_mask:0xf bank_mask:0xf// 0000000032C4: 0A2020FA FF015042
	v_mul_f32_dpp v17, v66, v17 row_newbcast:1 row_mask:0xf bank_mask:0xf// 0000000032CC: 0A2222FA FF015142
	v_mul_f32_dpp v18, v66, v18 row_newbcast:2 row_mask:0xf bank_mask:0xf// 0000000032D4: 0A2424FA FF015242
	v_mul_f32_dpp v19, v66, v19 row_newbcast:3 row_mask:0xf bank_mask:0xf// 0000000032DC: 0A2626FA FF015342
	v_pk_mul_f32 v[20:21], v[64:65], v[20:21]                  // 0000000032E4: D3B14014 18022940
	v_pk_mul_f32 v[22:23], v[64:65], v[22:23]                  // 0000000032EC: D3B14016 18022D40
	v_mul_f32_dpp v20, v66, v20 row_newbcast:4 row_mask:0xf bank_mask:0xf// 0000000032F4: 0A2828FA FF015442
	v_mul_f32_dpp v21, v66, v21 row_newbcast:5 row_mask:0xf bank_mask:0xf// 0000000032FC: 0A2A2AFA FF015542
	v_mul_f32_dpp v22, v66, v22 row_newbcast:6 row_mask:0xf bank_mask:0xf// 000000003304: 0A2C2CFA FF015642
	v_mul_f32_dpp v23, v66, v23 row_newbcast:7 row_mask:0xf bank_mask:0xf// 00000000330C: 0A2E2EFA FF015742
	v_pk_mul_f32 v[24:25], v[64:65], v[24:25]                  // 000000003314: D3B14018 18023140
	v_pk_mul_f32 v[26:27], v[64:65], v[26:27]                  // 00000000331C: D3B1401A 18023540
	v_mul_f32_dpp v24, v66, v24 row_newbcast:8 row_mask:0xf bank_mask:0xf// 000000003324: 0A3030FA FF015842
	v_mul_f32_dpp v25, v66, v25 row_newbcast:9 row_mask:0xf bank_mask:0xf// 00000000332C: 0A3232FA FF015942
	v_mul_f32_dpp v26, v66, v26 row_newbcast:10 row_mask:0xf bank_mask:0xf// 000000003334: 0A3434FA FF015A42
	v_mul_f32_dpp v27, v66, v27 row_newbcast:11 row_mask:0xf bank_mask:0xf// 00000000333C: 0A3636FA FF015B42
	v_pk_mul_f32 v[28:29], v[64:65], v[28:29]                  // 000000003344: D3B1401C 18023940
	v_pk_mul_f32 v[30:31], v[64:65], v[30:31]                  // 00000000334C: D3B1401E 18023D40
	v_mul_f32_dpp v28, v66, v28 row_newbcast:12 row_mask:0xf bank_mask:0xf// 000000003354: 0A3838FA FF015C42
	v_mul_f32_dpp v29, v66, v29 row_newbcast:13 row_mask:0xf bank_mask:0xf// 00000000335C: 0A3A3AFA FF015D42
	v_mul_f32_dpp v30, v66, v30 row_newbcast:14 row_mask:0xf bank_mask:0xf// 000000003364: 0A3C3CFA FF015E42
	v_mul_f32_dpp v31, v66, v31 row_newbcast:15 row_mask:0xf bank_mask:0xf// 00000000336C: 0A3E3EFA FF015F42
	buffer_load_dwordx4 a[48:51], v108, s[12:15], 0 offen offset:2048// 000000003374: E05C1800 8083306C
	v_mov_b32_e32 v92, v16                                     // 00000000337C: 7EB80310
	v_max3_f32 v92, v16, v17, v92                              // 000000003380: D1D3005C 05722310
	v_max3_f32 v92, v18, v19, v92                              // 000000003388: D1D3005C 05722712
	v_max3_f32 v92, v20, v21, v92                              // 000000003390: D1D3005C 05722B14
	v_max3_f32 v92, v22, v23, v92                              // 000000003398: D1D3005C 05722F16
	v_max3_f32 v92, v24, v25, v92                              // 0000000033A0: D1D3005C 05723318
	v_max3_f32 v92, v26, v27, v92                              // 0000000033A8: D1D3005C 0572371A
	v_max3_f32 v92, v28, v29, v92                              // 0000000033B0: D1D3005C 05723B1C
	v_max3_f32 v92, v30, v31, v92                              // 0000000033B8: D1D3005C 05723F1E
	ds_write_b32 v124, v92                                     // 0000000033C0: D81A0000 00005C7C
	v_pk_mul_f32 v[56:57], v[94:95], v[56:57]                  // 0000000033C8: D3B14038 1802715E
	v_pk_mul_f32 v[58:59], v[94:95], v[58:59]                  // 0000000033D0: D3B1403A 1802755E
	v_pk_mul_f32 v[60:61], v[94:95], v[60:61]                  // 0000000033D8: D3B1403C 1802795E
	v_pk_mul_f32 v[62:63], v[94:95], v[62:63]                  // 0000000033E0: D3B1403E 18027D5E
	buffer_load_dwordx4 a[52:55], v109, s[12:15], 0 offen offset:2048// 0000000033E8: E05C1800 8083346D
	s_waitcnt lgkmcnt(0)                                       // 0000000033F0: BF8CC07F
	s_barrier                                                  // 0000000033F4: BF8A0000
	ds_read_b32 v76, v125                                      // 0000000033F8: D86C0000 4C00007D
	ds_read_b32 v77, v125 offset:64                            // 000000003400: D86C0040 4D00007D
	ds_read_b32 v78, v125 offset:128                           // 000000003408: D86C0080 4E00007D
	ds_read_b32 v79, v125 offset:192                           // 000000003410: D86C00C0 4F00007D
	ds_read_b32 v80, v125 offset:256                           // 000000003418: D86C0100 5000007D
	ds_read_b32 v81, v125 offset:320                           // 000000003420: D86C0140 5100007D
	ds_read_b32 v82, v125 offset:384                           // 000000003428: D86C0180 5200007D
	ds_read_b32 v83, v125 offset:448                           // 000000003430: D86C01C0 5300007D
	ds_read_b32 v84, v125 offset:512                           // 000000003438: D86C0200 5400007D
	ds_read_b32 v85, v125 offset:576                           // 000000003440: D86C0240 5500007D
	ds_read_b32 v86, v125 offset:640                           // 000000003448: D86C0280 5600007D
	ds_read_b32 v87, v125 offset:704                           // 000000003450: D86C02C0 5700007D
	ds_read_b32 v88, v125 offset:768                           // 000000003458: D86C0300 5800007D
	ds_read_b32 v89, v125 offset:832                           // 000000003460: D86C0340 5900007D
	ds_read_b32 v90, v125 offset:896                           // 000000003468: D86C0380 5A00007D
	ds_read_b32 v91, v125 offset:960                           // 000000003470: D86C03C0 5B00007D
	buffer_load_dwordx4 a[60:63], v109, s[12:15], 0 offen offset:3072// 000000003478: E05C1C00 80833C6D
	v_pk_mul_f32 v[48:49], v[70:71], v[48:49]                  // 000000003480: D3B14030 18026146
	v_pk_mul_f32 v[50:51], v[70:71], v[50:51]                  // 000000003488: D3B14032 18026546
	v_pk_mul_f32 v[52:53], v[70:71], v[52:53]                  // 000000003490: D3B14034 18026946
	v_pk_mul_f32 v[54:55], v[70:71], v[54:55]                  // 000000003498: D3B14036 18026D46
	buffer_load_dwordx4 a[56:59], v108, s[12:15], 0 offen offset:3072// 0000000034A0: E05C1C00 8083386C
	s_waitcnt lgkmcnt(0)                                       // 0000000034A8: BF8CC07F
	v_max3_f32 v92, v76, v77, v92                              // 0000000034AC: D1D3005C 05729B4C
	v_max3_f32 v92, v78, v79, v92                              // 0000000034B4: D1D3005C 05729F4E
	v_max3_f32 v92, v80, v81, v92                              // 0000000034BC: D1D3005C 0572A350
	v_max3_f32 v92, v82, v83, v92                              // 0000000034C4: D1D3005C 0572A752
	v_max3_f32 v92, v84, v85, v92                              // 0000000034CC: D1D3005C 0572AB54
	v_max3_f32 v92, v86, v87, v92                              // 0000000034D4: D1D3005C 0572AF56
	v_max3_f32 v92, v88, v89, v92                              // 0000000034DC: D1D3005C 0572B358
	v_max3_f32 v92, v90, v91, v92                              // 0000000034E4: D1D3005C 0572B75A
	v_max_f32_e32 v97, v92, v96                                // 0000000034EC: 16C2C15C
	v_mul_f32_e64 v72, -s58, v97                               // 0000000034F0: D1050048 2002C23A
	v_mov_b32_e32 v73, v72                                     // 0000000034F8: 7E920348
	v_pk_fma_f32 v[16:17], v[16:17], s[88:89], v[72:73]        // 0000000034FC: D3B04010 1D20B110
	v_pk_fma_f32 v[18:19], v[18:19], s[88:89], v[72:73]        // 000000003504: D3B04012 1D20B112
	v_exp_f32_e32 v16, v16                                     // 00000000350C: 7E204110
	v_exp_f32_e32 v17, v17                                     // 000000003510: 7E224111
	v_exp_f32_e32 v18, v18                                     // 000000003514: 7E244112
	v_exp_f32_e32 v19, v19                                     // 000000003518: 7E264113
	v_pk_fma_f32 v[20:21], v[20:21], s[88:89], v[72:73]        // 00000000351C: D3B04014 1D20B114
	v_pk_fma_f32 v[22:23], v[22:23], s[88:89], v[72:73]        // 000000003524: D3B04016 1D20B116
	v_exp_f32_e32 v20, v20                                     // 00000000352C: 7E284114
	v_exp_f32_e32 v21, v21                                     // 000000003530: 7E2A4115
	v_exp_f32_e32 v22, v22                                     // 000000003534: 7E2C4116
	v_exp_f32_e32 v23, v23                                     // 000000003538: 7E2E4117
	v_pk_fma_f32 v[24:25], v[24:25], s[88:89], v[72:73]        // 00000000353C: D3B04018 1D20B118
	v_pk_fma_f32 v[26:27], v[26:27], s[88:89], v[72:73]        // 000000003544: D3B0401A 1D20B11A
	v_exp_f32_e32 v24, v24                                     // 00000000354C: 7E304118
	v_exp_f32_e32 v25, v25                                     // 000000003550: 7E324119
	v_exp_f32_e32 v26, v26                                     // 000000003554: 7E34411A
	v_exp_f32_e32 v27, v27                                     // 000000003558: 7E36411B
	v_pk_fma_f32 v[28:29], v[28:29], s[88:89], v[72:73]        // 00000000355C: D3B0401C 1D20B11C
	v_pk_fma_f32 v[30:31], v[30:31], s[88:89], v[72:73]        // 000000003564: D3B0401E 1D20B11E
	v_exp_f32_e32 v28, v28                                     // 00000000356C: 7E38411C
	v_exp_f32_e32 v29, v29                                     // 000000003570: 7E3A411D
	v_exp_f32_e32 v30, v30                                     // 000000003574: 7E3C411E
	v_exp_f32_e32 v31, v31                                     // 000000003578: 7E3E411F
	v_mul_f32_dpp v32, v68, v16 row_newbcast:0 row_mask:0xf bank_mask:0xf// 00000000357C: 0A4020FA FF015044
	v_mul_f32_dpp v33, v68, v17 row_newbcast:1 row_mask:0xf bank_mask:0xf// 000000003584: 0A4222FA FF015144
	v_mul_f32_dpp v34, v68, v18 row_newbcast:2 row_mask:0xf bank_mask:0xf// 00000000358C: 0A4424FA FF015244
	v_mul_f32_dpp v35, v68, v19 row_newbcast:3 row_mask:0xf bank_mask:0xf// 000000003594: 0A4626FA FF015344
	v_mul_f32_dpp v36, v68, v20 row_newbcast:4 row_mask:0xf bank_mask:0xf// 00000000359C: 0A4828FA FF015444
	v_mul_f32_dpp v37, v68, v21 row_newbcast:5 row_mask:0xf bank_mask:0xf// 0000000035A4: 0A4A2AFA FF015544
	v_mul_f32_dpp v38, v68, v22 row_newbcast:6 row_mask:0xf bank_mask:0xf// 0000000035AC: 0A4C2CFA FF015644
	v_mul_f32_dpp v39, v68, v23 row_newbcast:7 row_mask:0xf bank_mask:0xf// 0000000035B4: 0A4E2EFA FF015744
	v_mul_f32_dpp v40, v68, v24 row_newbcast:8 row_mask:0xf bank_mask:0xf// 0000000035BC: 0A5030FA FF015844
	v_mul_f32_dpp v41, v68, v25 row_newbcast:9 row_mask:0xf bank_mask:0xf// 0000000035C4: 0A5232FA FF015944
	v_mul_f32_dpp v42, v68, v26 row_newbcast:10 row_mask:0xf bank_mask:0xf// 0000000035CC: 0A5434FA FF015A44
	v_mul_f32_dpp v43, v68, v27 row_newbcast:11 row_mask:0xf bank_mask:0xf// 0000000035D4: 0A5636FA FF015B44
	v_mul_f32_dpp v44, v68, v28 row_newbcast:12 row_mask:0xf bank_mask:0xf// 0000000035DC: 0A5838FA FF015C44
	v_mul_f32_dpp v45, v68, v29 row_newbcast:13 row_mask:0xf bank_mask:0xf// 0000000035E4: 0A5A3AFA FF015D44
	v_mul_f32_dpp v46, v68, v30 row_newbcast:14 row_mask:0xf bank_mask:0xf// 0000000035EC: 0A5C3CFA FF015E44
	v_mul_f32_dpp v47, v68, v31 row_newbcast:15 row_mask:0xf bank_mask:0xf// 0000000035F4: 0A5E3EFA FF015F44
	v_mov_b32_e32 v92, 0x358637bd                              // 0000000035FC: 7EB802FF 358637BD
	v_max3_f32 v92, |v32|, |v33|, v92                          // 000000003604: D1D3035C 05724320
	v_max3_f32 v92, |v34|, |v35|, v92                          // 00000000360C: D1D3035C 05724722
	v_max3_f32 v92, |v36|, |v37|, v92                          // 000000003614: D1D3035C 05724B24
	v_max3_f32 v92, |v38|, |v39|, v92                          // 00000000361C: D1D3035C 05724F26
	v_max3_f32 v92, |v40|, |v41|, v92                          // 000000003624: D1D3035C 05725328
	v_max3_f32 v92, |v42|, |v43|, v92                          // 00000000362C: D1D3035C 0572572A
	v_max3_f32 v92, |v44|, |v45|, v92                          // 000000003634: D1D3035C 05725B2C
	v_max3_f32 v92, |v46|, |v47|, v92                          // 00000000363C: D1D3035C 05725F2E
	ds_write_b32 v124, v92 offset:1280                         // 000000003644: D81A0500 00005C7C
	buffer_load_dword v67, v114, s[24:27], 0 offen             // 00000000364C: E0501000 80064372
	v_sub_f32_e32 v94, v96, v97                                // 000000003654: 04BCC360
	v_cmp_eq_u32_e64 s[86:87], v105, v96                       // 000000003658: D0CA0056 0002C169
	s_nop 0                                                    // 000000003660: BF800000
	v_cndmask_b32_e64 v94, v94, 0, s[86:87]                    // 000000003664: D100005E 0159015E
	v_mov_b32_e32 v96, v97                                     // 00000000366C: 7EC00361
	v_mul_f32_e32 v94, s58, v94                                // 000000003670: 0ABCBC3A
	v_exp_f32_e32 v94, v94                                     // 000000003674: 7EBC415E
	s_nop 0                                                    // 000000003678: BF800000
	v_mov_b32_e32 v95, v94                                     // 00000000367C: 7EBE035E
	buffer_load_dword v69, v115, s[28:31], 0 offen             // 000000003680: E0501000 80074573
	s_waitcnt lgkmcnt(0)                                       // 000000003688: BF8CC07F
	s_barrier                                                  // 00000000368C: BF8A0000
	ds_read_b32 v76, v125 offset:1280                          // 000000003690: D86C0500 4C00007D
	ds_read_b32 v77, v125 offset:1344                          // 000000003698: D86C0540 4D00007D
	ds_read_b32 v78, v125 offset:1408                          // 0000000036A0: D86C0580 4E00007D
	ds_read_b32 v79, v125 offset:1472                          // 0000000036A8: D86C05C0 4F00007D
	ds_read_b32 v80, v125 offset:1536                          // 0000000036B0: D86C0600 5000007D
	ds_read_b32 v81, v125 offset:1600                          // 0000000036B8: D86C0640 5100007D
	ds_read_b32 v82, v125 offset:1664                          // 0000000036C0: D86C0680 5200007D
	ds_read_b32 v83, v125 offset:1728                          // 0000000036C8: D86C06C0 5300007D
	ds_read_b32 v84, v125 offset:1792                          // 0000000036D0: D86C0700 5400007D
	ds_read_b32 v85, v125 offset:1856                          // 0000000036D8: D86C0740 5500007D
	ds_read_b32 v86, v125 offset:1920                          // 0000000036E0: D86C0780 5600007D
	ds_read_b32 v87, v125 offset:1984                          // 0000000036E8: D86C07C0 5700007D
	ds_read_b32 v88, v125 offset:2048                          // 0000000036F0: D86C0800 5800007D
	ds_read_b32 v89, v125 offset:2112                          // 0000000036F8: D86C0840 5900007D
	ds_read_b32 v90, v125 offset:2176                          // 000000003700: D86C0880 5A00007D
	ds_read_b32 v91, v125 offset:2240                          // 000000003708: D86C08C0 5B00007D
	buffer_load_dwordx4 a[96:99], v110, s[16:19], 0 offen      // 000000003710: E05C1000 8084606E
	v_mul_f32_e32 v98, v94, v98                                // 000000003718: 0AC4C55E
	v_add_f32_e32 v98, v16, v98                                // 00000000371C: 02C4C510
	v_add_f32_e32 v98, v17, v98                                // 000000003720: 02C4C511
	v_add_f32_e32 v98, v18, v98                                // 000000003724: 02C4C512
	v_add_f32_e32 v98, v19, v98                                // 000000003728: 02C4C513
	v_add_f32_e32 v98, v20, v98                                // 00000000372C: 02C4C514
	v_add_f32_e32 v98, v21, v98                                // 000000003730: 02C4C515
	v_add_f32_e32 v98, v22, v98                                // 000000003734: 02C4C516
	v_add_f32_e32 v98, v23, v98                                // 000000003738: 02C4C517
	v_add_f32_e32 v98, v24, v98                                // 00000000373C: 02C4C518
	v_add_f32_e32 v98, v25, v98                                // 000000003740: 02C4C519
	v_add_f32_e32 v98, v26, v98                                // 000000003744: 02C4C51A
	v_add_f32_e32 v98, v27, v98                                // 000000003748: 02C4C51B
	v_add_f32_e32 v98, v28, v98                                // 00000000374C: 02C4C51C
	v_add_f32_e32 v98, v29, v98                                // 000000003750: 02C4C51D
	v_add_f32_e32 v98, v30, v98                                // 000000003754: 02C4C51E
	v_add_f32_e32 v98, v31, v98                                // 000000003758: 02C4C51F
	buffer_load_dwordx4 a[100:103], v111, s[16:19], 0 offen    // 00000000375C: E05C1000 8084646F
	s_waitcnt lgkmcnt(0)                                       // 000000003764: BF8CC07F
	v_max3_f32 v92, v76, v77, v92                              // 000000003768: D1D3005C 05729B4C
	v_max3_f32 v92, v78, v79, v92                              // 000000003770: D1D3005C 05729F4E
	v_max3_f32 v92, v80, v81, v92                              // 000000003778: D1D3005C 0572A350
	v_max3_f32 v92, v82, v83, v92                              // 000000003780: D1D3005C 0572A752
	v_max3_f32 v92, v84, v85, v92                              // 000000003788: D1D3005C 0572AB54
	v_max3_f32 v92, v86, v87, v92                              // 000000003790: D1D3005C 0572AF56
	v_max3_f32 v92, v88, v89, v92                              // 000000003798: D1D3005C 0572B358
	v_max3_f32 v92, v90, v91, v92                              // 0000000037A0: D1D3005C 0572B75A
	v_rcp_f32_e32 v92, v92                                     // 0000000037A8: 7EB8455C
	s_nop 0                                                    // 0000000037AC: BF800000
	v_mul_f32_e32 v92, 0x43700000, v92                         // 0000000037B0: 0AB8B8FF 43700000
	v_mov_b32_e32 v93, v92                                     // 0000000037B8: 7EBA035C
	v_pk_mul_f32 v[16:17], v[92:93], v[32:33]                  // 0000000037BC: D3B14010 1802415C
	v_pk_mul_f32 v[18:19], v[92:93], v[34:35]                  // 0000000037C4: D3B14012 1802455C
	v_pk_mul_f32 v[20:21], v[92:93], v[36:37]                  // 0000000037CC: D3B14014 1802495C
	v_pk_mul_f32 v[22:23], v[92:93], v[38:39]                  // 0000000037D4: D3B14016 18024D5C
	v_pk_mul_f32 v[24:25], v[92:93], v[40:41]                  // 0000000037DC: D3B14018 1802515C
	v_pk_mul_f32 v[26:27], v[92:93], v[42:43]                  // 0000000037E4: D3B1401A 1802555C
	v_pk_mul_f32 v[28:29], v[92:93], v[44:45]                  // 0000000037EC: D3B1401C 1802595C
	v_pk_mul_f32 v[30:31], v[92:93], v[46:47]                  // 0000000037F4: D3B1401E 18025D5C
	v_cvt_pk_fp8_f32 v16, v16, v17                             // 0000000037FC: D2A20010 00022310
	v_cvt_pk_fp8_f32 v16, v18, v19 op_sel:[0,0,1]              // 000000003804: D2A24010 00022712
	v_cvt_pk_fp8_f32 v17, v20, v21                             // 00000000380C: D2A20011 00022B14
	v_cvt_pk_fp8_f32 v17, v22, v23 op_sel:[0,0,1]              // 000000003814: D2A24011 00022F16
	v_cvt_pk_fp8_f32 v18, v24, v25                             // 00000000381C: D2A20012 00023318
	v_cvt_pk_fp8_f32 v18, v26, v27 op_sel:[0,0,1]              // 000000003824: D2A24012 0002371A
	v_cvt_pk_fp8_f32 v19, v28, v29                             // 00000000382C: D2A20013 00023B1C
	v_cvt_pk_fp8_f32 v19, v30, v31 op_sel:[0,0,1]              // 000000003834: D2A24013 00023F1E
	ds_write_b32 v126, v16 offset:2560                         // 00000000383C: D81A0A00 0000107E
	ds_write_b32 v126, v17 offset:3584                         // 000000003844: D81A0E00 0000117E
	ds_write_b32 v126, v18 offset:4608                         // 00000000384C: D81A1200 0000127E
	ds_write_b32 v126, v19 offset:5632                         // 000000003854: D81A1600 0000137E
	v_rcp_f32_e32 v70, v92                                     // 00000000385C: 7E8C455C
	s_nop 0                                                    // 000000003860: BF800000
	v_mov_b32_e32 v71, v70                                     // 000000003864: 7E8E0346
	buffer_load_dwordx4 a[104:107], v112, s[16:19], 0 offen    // 000000003868: E05C1000 80846870
	v_pk_add_f32 v[56:57], v[56:57], v[48:49]                  // 000000003870: D3B24038 18026138
	v_pk_add_f32 v[58:59], v[58:59], v[50:51]                  // 000000003878: D3B2403A 1802653A
	v_pk_add_f32 v[60:61], v[60:61], v[52:53]                  // 000000003880: D3B2403C 1802693C
	v_pk_add_f32 v[62:63], v[62:63], v[54:55]                  // 000000003888: D3B2403E 18026D3E
	s_waitcnt lgkmcnt(0)                                       // 000000003890: BF8CC07F
	s_barrier                                                  // 000000003894: BF8A0000
	ds_read_b128 v[16:19], v127 offset:2560                    // 000000003898: D9FE0A00 1000007F
	ds_read_b128 v[20:23], v127 offset:3584                    // 0000000038A0: D9FE0E00 1400007F
	ds_read_b128 v[24:27], v127 offset:4608                    // 0000000038A8: D9FE1200 1800007F
	ds_read_b128 v[28:31], v127 offset:5632                    // 0000000038B0: D9FE1600 1C00007F
	buffer_load_dwordx4 a[108:111], v113, s[16:19], 0 offen    // 0000000038B8: E05C1000 80846C71
	s_waitcnt vmcnt(14)                                        // 0000000038C0: BF8C0F7E
	s_waitcnt lgkmcnt(3)                                       // 0000000038C4: BF8CC37F
	v_mfma_f32_16x16x32_fp8_fp8 v[48:51], a[64:65], v[16:17], 0// 0000000038C8: D3F30030 0A022140
	s_addk_i32 s67, 0x1                                        // 0000000038D0: B7430001
	v_mfma_f32_16x16x32_fp8_fp8 v[52:55], a[80:81], v[16:17], 0// 0000000038D4: D3F30034 0A022150
	s_cmp_lt_u32 s67, s97                                      // 0000000038DC: BF0A6143
	s_cselect_b32 s68, 4, 0                                    // 0000000038E0: 85448084
	v_mfma_f32_16x16x32_fp8_fp8 v[48:51], a[66:67], v[18:19], v[48:51]// 0000000038E4: D3F30030 0CC22542
	s_add_u32 s20, s20, s68                                    // 0000000038EC: 80144414
	s_addc_u32 s21, s21, 0                                     // 0000000038F0: 82158015
	v_mfma_f32_16x16x32_fp8_fp8 v[52:55], a[82:83], v[18:19], v[52:55]// 0000000038F4: D3F30034 0CD22552
	buffer_load_dwordx4 a[112:115], v110, s[16:19], 0 offen offset:1024// 0000000038FC: E05C1400 8084706E
	s_waitcnt lgkmcnt(2)                                       // 000000003904: BF8CC27F
	v_mfma_f32_16x16x32_fp8_fp8 v[48:51], a[68:69], v[20:21], v[48:51]// 000000003908: D3F30030 0CC22944
	v_mfma_f32_16x16x32_fp8_fp8 v[52:55], a[84:85], v[20:21], v[52:55]// 000000003910: D3F30034 0CD22954
	v_mfma_f32_16x16x32_fp8_fp8 v[48:51], a[70:71], v[22:23], v[48:51]// 000000003918: D3F30030 0CC22D46
	v_mfma_f32_16x16x32_fp8_fp8 v[52:55], a[86:87], v[22:23], v[52:55]// 000000003920: D3F30034 0CD22D56
	buffer_load_dwordx4 a[116:119], v111, s[16:19], 0 offen offset:1024// 000000003928: E05C1400 8084746F
	s_waitcnt lgkmcnt(1)                                       // 000000003930: BF8CC17F
	v_mfma_f32_16x16x32_fp8_fp8 v[48:51], a[72:73], v[24:25], v[48:51]// 000000003934: D3F30030 0CC23148
	v_mfma_f32_16x16x32_fp8_fp8 v[52:55], a[88:89], v[24:25], v[52:55]// 00000000393C: D3F30034 0CD23158
	v_mfma_f32_16x16x32_fp8_fp8 v[48:51], a[74:75], v[26:27], v[48:51]// 000000003944: D3F30030 0CC2354A
	v_mfma_f32_16x16x32_fp8_fp8 v[52:55], a[90:91], v[26:27], v[52:55]// 00000000394C: D3F30034 0CD2355A
	buffer_load_dwordx4 a[120:123], v112, s[16:19], 0 offen offset:1024// 000000003954: E05C1400 80847870
	s_waitcnt lgkmcnt(0)                                       // 00000000395C: BF8CC07F
	v_mfma_f32_16x16x32_fp8_fp8 v[48:51], a[76:77], v[28:29], v[48:51]// 000000003960: D3F30030 0CC2394C
	v_mfma_f32_16x16x32_fp8_fp8 v[52:55], a[92:93], v[28:29], v[52:55]// 000000003968: D3F30034 0CD2395C
	v_mfma_f32_16x16x32_fp8_fp8 v[48:51], a[78:79], v[30:31], v[48:51]// 000000003970: D3F30030 0CC23D4E
	v_mfma_f32_16x16x32_fp8_fp8 v[52:55], a[94:95], v[30:31], v[52:55]// 000000003978: D3F30034 0CD23D5E
	buffer_load_dwordx4 a[124:127], v113, s[16:19], 0 offen offset:1024// 000000003980: E05C1400 80847C71
	s_load_dword s66, s[20:21], 0x0                            // 000000003988: C002108A 00000000
	s_addk_i32 s56, 0x100                                      // 000000003990: B7380100
	s_cmp_lt_i32 s56, s57                                      // 000000003994: BF043938
	s_cbranch_scc0 label_1474                                  // 000000003998: BF840FCD
	s_waitcnt vmcnt(10)                                        // 00000000399C: BF8C0F7A
	v_mfma_f32_16x16x32_fp8_fp8 v[16:19], a[32:33], v[8:9], 0  // 0000000039A0: D3F30010 0A021120
	s_add_u32 s12, s78, s69                                    // 0000000039A8: 800C454E
	s_addc_u32 s13, s79, 0                                     // 0000000039AC: 820D804F
	v_mfma_f32_16x16x32_fp8_fp8 v[16:19], a[34:35], v[10:11], v[16:19]// 0000000039B0: D3F30010 0C421522
	buffer_load_dwordx4 a[0:3], v108, s[12:15], 0 offen        // 0000000039B8: E05C1000 8083006C
	v_mfma_f32_16x16x32_fp8_fp8 v[16:19], a[36:37], v[12:13], v[16:19]// 0000000039C0: D3F30010 0C421924
	s_add_u32 s16, s80, s70                                    // 0000000039C8: 80104650
	s_addc_u32 s17, s81, 0                                     // 0000000039CC: 82118051
	v_mfma_f32_16x16x32_fp8_fp8 v[16:19], a[38:39], v[14:15], v[16:19]// 0000000039D0: D3F30010 0C421D26
	s_add_u32 s24, s82, s71                                    // 0000000039D8: 80184752
	s_addc_u32 s25, s83, 0                                     // 0000000039DC: 82198053
	v_mfma_f32_16x16x32_fp8_fp8 v[20:23], a[40:41], v[8:9], 0  // 0000000039E0: D3F30014 0A021128
	s_add_u32 s28, s84, s71                                    // 0000000039E8: 801C4754
	s_addc_u32 s29, s85, 0                                     // 0000000039EC: 821D8055
	v_mfma_f32_16x16x32_fp8_fp8 v[20:23], a[42:43], v[10:11], v[20:23]// 0000000039F0: D3F30014 0C52152A
	buffer_load_dwordx4 a[4:7], v109, s[12:15], 0 offen        // 0000000039F8: E05C1000 8083046D
	v_mfma_f32_16x16x32_fp8_fp8 v[20:23], a[44:45], v[12:13], v[20:23]// 000000003A00: D3F30014 0C52192C
	s_add_u32 s69, s69, 0x1000                                 // 000000003A08: 8045FF45 00001000
	s_add_u32 s70, s70, 0x8000                                 // 000000003A10: 8046FF46 00008000
	v_mfma_f32_16x16x32_fp8_fp8 v[20:23], a[46:47], v[14:15], v[20:23]// 000000003A18: D3F30014 0C521D2E
	s_add_u32 s71, s71, 0x400                                  // 000000003A20: 8047FF47 00000400
	v_mfma_f32_16x16x32_fp8_fp8 v[24:27], a[48:49], v[8:9], 0  // 000000003A28: D3F30018 0A021130
	v_mfma_f32_16x16x32_fp8_fp8 v[24:27], a[50:51], v[10:11], v[24:27]// 000000003A30: D3F30018 0C621532
	buffer_load_dwordx4 a[8:11], v108, s[12:15], 0 offen offset:1024// 000000003A38: E05C1400 8083086C
	v_mfma_f32_16x16x32_fp8_fp8 v[24:27], a[52:53], v[12:13], v[24:27]// 000000003A40: D3F30018 0C621934
	v_mfma_f32_16x16x32_fp8_fp8 v[24:27], a[54:55], v[14:15], v[24:27]// 000000003A48: D3F30018 0C621D36
	v_mfma_f32_16x16x32_fp8_fp8 v[28:31], a[56:57], v[8:9], 0  // 000000003A50: D3F3001C 0A021138
	v_mfma_f32_16x16x32_fp8_fp8 v[28:31], a[58:59], v[10:11], v[28:31]// 000000003A58: D3F3001C 0C72153A
	buffer_load_dwordx4 a[12:15], v109, s[12:15], 0 offen offset:1024// 000000003A60: E05C1400 80830C6D
	v_mfma_f32_16x16x32_fp8_fp8 v[28:31], a[60:61], v[12:13], v[28:31]// 000000003A68: D3F3001C 0C72193C
	v_mfma_f32_16x16x32_fp8_fp8 v[28:31], a[62:63], v[14:15], v[28:31]// 000000003A70: D3F3001C 0C721D3E
	s_waitcnt vmcnt(12)                                        // 000000003A78: BF8C0F7C
	v_pk_mul_f32 v[16:17], v[64:65], v[16:17]                  // 000000003A7C: D3B14010 18022140
	v_pk_mul_f32 v[18:19], v[64:65], v[18:19]                  // 000000003A84: D3B14012 18022540
	v_mul_f32_dpp v16, v67, v16 row_newbcast:0 row_mask:0xf bank_mask:0xf// 000000003A8C: 0A2020FA FF015043
	v_mul_f32_dpp v17, v67, v17 row_newbcast:1 row_mask:0xf bank_mask:0xf// 000000003A94: 0A2222FA FF015143
	v_mul_f32_dpp v18, v67, v18 row_newbcast:2 row_mask:0xf bank_mask:0xf// 000000003A9C: 0A2424FA FF015243
	v_mul_f32_dpp v19, v67, v19 row_newbcast:3 row_mask:0xf bank_mask:0xf// 000000003AA4: 0A2626FA FF015343
	v_pk_mul_f32 v[20:21], v[64:65], v[20:21]                  // 000000003AAC: D3B14014 18022940
	v_pk_mul_f32 v[22:23], v[64:65], v[22:23]                  // 000000003AB4: D3B14016 18022D40
	v_mul_f32_dpp v20, v67, v20 row_newbcast:4 row_mask:0xf bank_mask:0xf// 000000003ABC: 0A2828FA FF015443
	v_mul_f32_dpp v21, v67, v21 row_newbcast:5 row_mask:0xf bank_mask:0xf// 000000003AC4: 0A2A2AFA FF015543
	v_mul_f32_dpp v22, v67, v22 row_newbcast:6 row_mask:0xf bank_mask:0xf// 000000003ACC: 0A2C2CFA FF015643
	v_mul_f32_dpp v23, v67, v23 row_newbcast:7 row_mask:0xf bank_mask:0xf// 000000003AD4: 0A2E2EFA FF015743
	v_pk_mul_f32 v[24:25], v[64:65], v[24:25]                  // 000000003ADC: D3B14018 18023140
	v_pk_mul_f32 v[26:27], v[64:65], v[26:27]                  // 000000003AE4: D3B1401A 18023540
	v_mul_f32_dpp v24, v67, v24 row_newbcast:8 row_mask:0xf bank_mask:0xf// 000000003AEC: 0A3030FA FF015843
	v_mul_f32_dpp v25, v67, v25 row_newbcast:9 row_mask:0xf bank_mask:0xf// 000000003AF4: 0A3232FA FF015943
	v_mul_f32_dpp v26, v67, v26 row_newbcast:10 row_mask:0xf bank_mask:0xf// 000000003AFC: 0A3434FA FF015A43
	v_mul_f32_dpp v27, v67, v27 row_newbcast:11 row_mask:0xf bank_mask:0xf// 000000003B04: 0A3636FA FF015B43
	v_pk_mul_f32 v[28:29], v[64:65], v[28:29]                  // 000000003B0C: D3B1401C 18023940
	v_pk_mul_f32 v[30:31], v[64:65], v[30:31]                  // 000000003B14: D3B1401E 18023D40
	v_mul_f32_dpp v28, v67, v28 row_newbcast:12 row_mask:0xf bank_mask:0xf// 000000003B1C: 0A3838FA FF015C43
	v_mul_f32_dpp v29, v67, v29 row_newbcast:13 row_mask:0xf bank_mask:0xf// 000000003B24: 0A3A3AFA FF015D43
	v_mul_f32_dpp v30, v67, v30 row_newbcast:14 row_mask:0xf bank_mask:0xf// 000000003B2C: 0A3C3CFA FF015E43
	v_mul_f32_dpp v31, v67, v31 row_newbcast:15 row_mask:0xf bank_mask:0xf// 000000003B34: 0A3E3EFA FF015F43
	buffer_load_dwordx4 a[16:19], v108, s[12:15], 0 offen offset:2048// 000000003B3C: E05C1800 8083106C
	v_mov_b32_e32 v92, v16                                     // 000000003B44: 7EB80310
	v_max3_f32 v92, v16, v17, v92                              // 000000003B48: D1D3005C 05722310
	v_max3_f32 v92, v18, v19, v92                              // 000000003B50: D1D3005C 05722712
	v_max3_f32 v92, v20, v21, v92                              // 000000003B58: D1D3005C 05722B14
	v_max3_f32 v92, v22, v23, v92                              // 000000003B60: D1D3005C 05722F16
	v_max3_f32 v92, v24, v25, v92                              // 000000003B68: D1D3005C 05723318
	v_max3_f32 v92, v26, v27, v92                              // 000000003B70: D1D3005C 0572371A
	v_max3_f32 v92, v28, v29, v92                              // 000000003B78: D1D3005C 05723B1C
	v_max3_f32 v92, v30, v31, v92                              // 000000003B80: D1D3005C 05723F1E
	ds_write_b32 v124, v92                                     // 000000003B88: D81A0000 00005C7C
	v_pk_mul_f32 v[56:57], v[94:95], v[56:57]                  // 000000003B90: D3B14038 1802715E
	v_pk_mul_f32 v[58:59], v[94:95], v[58:59]                  // 000000003B98: D3B1403A 1802755E
	v_pk_mul_f32 v[60:61], v[94:95], v[60:61]                  // 000000003BA0: D3B1403C 1802795E
	v_pk_mul_f32 v[62:63], v[94:95], v[62:63]                  // 000000003BA8: D3B1403E 18027D5E
	buffer_load_dwordx4 a[20:23], v109, s[12:15], 0 offen offset:2048// 000000003BB0: E05C1800 8083146D
	s_waitcnt lgkmcnt(0)                                       // 000000003BB8: BF8CC07F
	s_barrier                                                  // 000000003BBC: BF8A0000
	ds_read_b32 v76, v125                                      // 000000003BC0: D86C0000 4C00007D
	ds_read_b32 v77, v125 offset:64                            // 000000003BC8: D86C0040 4D00007D
	ds_read_b32 v78, v125 offset:128                           // 000000003BD0: D86C0080 4E00007D
	ds_read_b32 v79, v125 offset:192                           // 000000003BD8: D86C00C0 4F00007D
	ds_read_b32 v80, v125 offset:256                           // 000000003BE0: D86C0100 5000007D
	ds_read_b32 v81, v125 offset:320                           // 000000003BE8: D86C0140 5100007D
	ds_read_b32 v82, v125 offset:384                           // 000000003BF0: D86C0180 5200007D
	ds_read_b32 v83, v125 offset:448                           // 000000003BF8: D86C01C0 5300007D
	ds_read_b32 v84, v125 offset:512                           // 000000003C00: D86C0200 5400007D
	ds_read_b32 v85, v125 offset:576                           // 000000003C08: D86C0240 5500007D
	ds_read_b32 v86, v125 offset:640                           // 000000003C10: D86C0280 5600007D
	ds_read_b32 v87, v125 offset:704                           // 000000003C18: D86C02C0 5700007D
	ds_read_b32 v88, v125 offset:768                           // 000000003C20: D86C0300 5800007D
	ds_read_b32 v89, v125 offset:832                           // 000000003C28: D86C0340 5900007D
	ds_read_b32 v90, v125 offset:896                           // 000000003C30: D86C0380 5A00007D
	ds_read_b32 v91, v125 offset:960                           // 000000003C38: D86C03C0 5B00007D
	buffer_load_dwordx4 a[28:31], v109, s[12:15], 0 offen offset:3072// 000000003C40: E05C1C00 80831C6D
	v_pk_mul_f32 v[48:49], v[70:71], v[48:49]                  // 000000003C48: D3B14030 18026146
	v_pk_mul_f32 v[50:51], v[70:71], v[50:51]                  // 000000003C50: D3B14032 18026546
	v_pk_mul_f32 v[52:53], v[70:71], v[52:53]                  // 000000003C58: D3B14034 18026946
	v_pk_mul_f32 v[54:55], v[70:71], v[54:55]                  // 000000003C60: D3B14036 18026D46
	buffer_load_dwordx4 a[24:27], v108, s[12:15], 0 offen offset:3072// 000000003C68: E05C1C00 8083186C
	s_waitcnt lgkmcnt(0)                                       // 000000003C70: BF8CC07F
	v_max3_f32 v92, v76, v77, v92                              // 000000003C74: D1D3005C 05729B4C
	v_max3_f32 v92, v78, v79, v92                              // 000000003C7C: D1D3005C 05729F4E
	v_max3_f32 v92, v80, v81, v92                              // 000000003C84: D1D3005C 0572A350
	v_max3_f32 v92, v82, v83, v92                              // 000000003C8C: D1D3005C 0572A752
	v_max3_f32 v92, v84, v85, v92                              // 000000003C94: D1D3005C 0572AB54
	v_max3_f32 v92, v86, v87, v92                              // 000000003C9C: D1D3005C 0572AF56
	v_max3_f32 v92, v88, v89, v92                              // 000000003CA4: D1D3005C 0572B358
	v_max3_f32 v92, v90, v91, v92                              // 000000003CAC: D1D3005C 0572B75A
	v_max_f32_e32 v97, v92, v96                                // 000000003CB4: 16C2C15C
	v_mul_f32_e64 v72, -s58, v97                               // 000000003CB8: D1050048 2002C23A
	v_mov_b32_e32 v73, v72                                     // 000000003CC0: 7E920348
	v_pk_fma_f32 v[16:17], v[16:17], s[88:89], v[72:73]        // 000000003CC4: D3B04010 1D20B110
	v_pk_fma_f32 v[18:19], v[18:19], s[88:89], v[72:73]        // 000000003CCC: D3B04012 1D20B112
	v_exp_f32_e32 v16, v16                                     // 000000003CD4: 7E204110
	v_exp_f32_e32 v17, v17                                     // 000000003CD8: 7E224111
	v_exp_f32_e32 v18, v18                                     // 000000003CDC: 7E244112
	v_exp_f32_e32 v19, v19                                     // 000000003CE0: 7E264113
	v_pk_fma_f32 v[20:21], v[20:21], s[88:89], v[72:73]        // 000000003CE4: D3B04014 1D20B114
	v_pk_fma_f32 v[22:23], v[22:23], s[88:89], v[72:73]        // 000000003CEC: D3B04016 1D20B116
	v_exp_f32_e32 v20, v20                                     // 000000003CF4: 7E284114
	v_exp_f32_e32 v21, v21                                     // 000000003CF8: 7E2A4115
	v_exp_f32_e32 v22, v22                                     // 000000003CFC: 7E2C4116
	v_exp_f32_e32 v23, v23                                     // 000000003D00: 7E2E4117
	v_pk_fma_f32 v[24:25], v[24:25], s[88:89], v[72:73]        // 000000003D04: D3B04018 1D20B118
	v_pk_fma_f32 v[26:27], v[26:27], s[88:89], v[72:73]        // 000000003D0C: D3B0401A 1D20B11A
	v_exp_f32_e32 v24, v24                                     // 000000003D14: 7E304118
	v_exp_f32_e32 v25, v25                                     // 000000003D18: 7E324119
	v_exp_f32_e32 v26, v26                                     // 000000003D1C: 7E34411A
	v_exp_f32_e32 v27, v27                                     // 000000003D20: 7E36411B
	v_pk_fma_f32 v[28:29], v[28:29], s[88:89], v[72:73]        // 000000003D24: D3B0401C 1D20B11C
	v_pk_fma_f32 v[30:31], v[30:31], s[88:89], v[72:73]        // 000000003D2C: D3B0401E 1D20B11E
	v_exp_f32_e32 v28, v28                                     // 000000003D34: 7E38411C
	v_exp_f32_e32 v29, v29                                     // 000000003D38: 7E3A411D
	v_exp_f32_e32 v30, v30                                     // 000000003D3C: 7E3C411E
	v_exp_f32_e32 v31, v31                                     // 000000003D40: 7E3E411F
	v_mul_f32_dpp v32, v69, v16 row_newbcast:0 row_mask:0xf bank_mask:0xf// 000000003D44: 0A4020FA FF015045
	v_mul_f32_dpp v33, v69, v17 row_newbcast:1 row_mask:0xf bank_mask:0xf// 000000003D4C: 0A4222FA FF015145
	v_mul_f32_dpp v34, v69, v18 row_newbcast:2 row_mask:0xf bank_mask:0xf// 000000003D54: 0A4424FA FF015245
	v_mul_f32_dpp v35, v69, v19 row_newbcast:3 row_mask:0xf bank_mask:0xf// 000000003D5C: 0A4626FA FF015345
	v_mul_f32_dpp v36, v69, v20 row_newbcast:4 row_mask:0xf bank_mask:0xf// 000000003D64: 0A4828FA FF015445
	v_mul_f32_dpp v37, v69, v21 row_newbcast:5 row_mask:0xf bank_mask:0xf// 000000003D6C: 0A4A2AFA FF015545
	v_mul_f32_dpp v38, v69, v22 row_newbcast:6 row_mask:0xf bank_mask:0xf// 000000003D74: 0A4C2CFA FF015645
	v_mul_f32_dpp v39, v69, v23 row_newbcast:7 row_mask:0xf bank_mask:0xf// 000000003D7C: 0A4E2EFA FF015745
	v_mul_f32_dpp v40, v69, v24 row_newbcast:8 row_mask:0xf bank_mask:0xf// 000000003D84: 0A5030FA FF015845
	v_mul_f32_dpp v41, v69, v25 row_newbcast:9 row_mask:0xf bank_mask:0xf// 000000003D8C: 0A5232FA FF015945
	v_mul_f32_dpp v42, v69, v26 row_newbcast:10 row_mask:0xf bank_mask:0xf// 000000003D94: 0A5434FA FF015A45
	v_mul_f32_dpp v43, v69, v27 row_newbcast:11 row_mask:0xf bank_mask:0xf// 000000003D9C: 0A5636FA FF015B45
	v_mul_f32_dpp v44, v69, v28 row_newbcast:12 row_mask:0xf bank_mask:0xf// 000000003DA4: 0A5838FA FF015C45
	v_mul_f32_dpp v45, v69, v29 row_newbcast:13 row_mask:0xf bank_mask:0xf// 000000003DAC: 0A5A3AFA FF015D45
	v_mul_f32_dpp v46, v69, v30 row_newbcast:14 row_mask:0xf bank_mask:0xf// 000000003DB4: 0A5C3CFA FF015E45
	v_mul_f32_dpp v47, v69, v31 row_newbcast:15 row_mask:0xf bank_mask:0xf// 000000003DBC: 0A5E3EFA FF015F45
	v_mov_b32_e32 v92, 0x358637bd                              // 000000003DC4: 7EB802FF 358637BD
	v_max3_f32 v92, |v32|, |v33|, v92                          // 000000003DCC: D1D3035C 05724320
	v_max3_f32 v92, |v34|, |v35|, v92                          // 000000003DD4: D1D3035C 05724722
	v_max3_f32 v92, |v36|, |v37|, v92                          // 000000003DDC: D1D3035C 05724B24
	v_max3_f32 v92, |v38|, |v39|, v92                          // 000000003DE4: D1D3035C 05724F26
	v_max3_f32 v92, |v40|, |v41|, v92                          // 000000003DEC: D1D3035C 05725328
	v_max3_f32 v92, |v42|, |v43|, v92                          // 000000003DF4: D1D3035C 0572572A
	v_max3_f32 v92, |v44|, |v45|, v92                          // 000000003DFC: D1D3035C 05725B2C
	v_max3_f32 v92, |v46|, |v47|, v92                          // 000000003E04: D1D3035C 05725F2E
	ds_write_b32 v124, v92 offset:1280                         // 000000003E0C: D81A0500 00005C7C
	buffer_load_dword v66, v114, s[24:27], 0 offen             // 000000003E14: E0501000 80064272
	v_sub_f32_e32 v94, v96, v97                                // 000000003E1C: 04BCC360
	v_cmp_eq_u32_e64 s[86:87], v105, v96                       // 000000003E20: D0CA0056 0002C169
	s_nop 0                                                    // 000000003E28: BF800000
	v_cndmask_b32_e64 v94, v94, 0, s[86:87]                    // 000000003E2C: D100005E 0159015E
	v_mov_b32_e32 v96, v97                                     // 000000003E34: 7EC00361
	v_mul_f32_e32 v94, s58, v94                                // 000000003E38: 0ABCBC3A
	v_exp_f32_e32 v94, v94                                     // 000000003E3C: 7EBC415E
	s_nop 0                                                    // 000000003E40: BF800000
	v_mov_b32_e32 v95, v94                                     // 000000003E44: 7EBE035E
	buffer_load_dword v68, v115, s[28:31], 0 offen             // 000000003E48: E0501000 80074473
	s_waitcnt lgkmcnt(0)                                       // 000000003E50: BF8CC07F
	s_barrier                                                  // 000000003E54: BF8A0000
	ds_read_b32 v76, v125 offset:1280                          // 000000003E58: D86C0500 4C00007D
	ds_read_b32 v77, v125 offset:1344                          // 000000003E60: D86C0540 4D00007D
	ds_read_b32 v78, v125 offset:1408                          // 000000003E68: D86C0580 4E00007D
	ds_read_b32 v79, v125 offset:1472                          // 000000003E70: D86C05C0 4F00007D
	ds_read_b32 v80, v125 offset:1536                          // 000000003E78: D86C0600 5000007D
	ds_read_b32 v81, v125 offset:1600                          // 000000003E80: D86C0640 5100007D
	ds_read_b32 v82, v125 offset:1664                          // 000000003E88: D86C0680 5200007D
	ds_read_b32 v83, v125 offset:1728                          // 000000003E90: D86C06C0 5300007D
	ds_read_b32 v84, v125 offset:1792                          // 000000003E98: D86C0700 5400007D
	ds_read_b32 v85, v125 offset:1856                          // 000000003EA0: D86C0740 5500007D
	ds_read_b32 v86, v125 offset:1920                          // 000000003EA8: D86C0780 5600007D
	ds_read_b32 v87, v125 offset:1984                          // 000000003EB0: D86C07C0 5700007D
	ds_read_b32 v88, v125 offset:2048                          // 000000003EB8: D86C0800 5800007D
	ds_read_b32 v89, v125 offset:2112                          // 000000003EC0: D86C0840 5900007D
	ds_read_b32 v90, v125 offset:2176                          // 000000003EC8: D86C0880 5A00007D
	ds_read_b32 v91, v125 offset:2240                          // 000000003ED0: D86C08C0 5B00007D
	buffer_load_dwordx4 a[64:67], v110, s[16:19], 0 offen      // 000000003ED8: E05C1000 8084406E
	v_mul_f32_e32 v98, v94, v98                                // 000000003EE0: 0AC4C55E
	v_add_f32_e32 v98, v16, v98                                // 000000003EE4: 02C4C510
	v_add_f32_e32 v98, v17, v98                                // 000000003EE8: 02C4C511
	v_add_f32_e32 v98, v18, v98                                // 000000003EEC: 02C4C512
	v_add_f32_e32 v98, v19, v98                                // 000000003EF0: 02C4C513
	v_add_f32_e32 v98, v20, v98                                // 000000003EF4: 02C4C514
	v_add_f32_e32 v98, v21, v98                                // 000000003EF8: 02C4C515
	v_add_f32_e32 v98, v22, v98                                // 000000003EFC: 02C4C516
	v_add_f32_e32 v98, v23, v98                                // 000000003F00: 02C4C517
	v_add_f32_e32 v98, v24, v98                                // 000000003F04: 02C4C518
	v_add_f32_e32 v98, v25, v98                                // 000000003F08: 02C4C519
	v_add_f32_e32 v98, v26, v98                                // 000000003F0C: 02C4C51A
	v_add_f32_e32 v98, v27, v98                                // 000000003F10: 02C4C51B
	v_add_f32_e32 v98, v28, v98                                // 000000003F14: 02C4C51C
	v_add_f32_e32 v98, v29, v98                                // 000000003F18: 02C4C51D
	v_add_f32_e32 v98, v30, v98                                // 000000003F1C: 02C4C51E
	v_add_f32_e32 v98, v31, v98                                // 000000003F20: 02C4C51F
	buffer_load_dwordx4 a[68:71], v111, s[16:19], 0 offen      // 000000003F24: E05C1000 8084446F
	s_waitcnt lgkmcnt(0)                                       // 000000003F2C: BF8CC07F
	v_max3_f32 v92, v76, v77, v92                              // 000000003F30: D1D3005C 05729B4C
	v_max3_f32 v92, v78, v79, v92                              // 000000003F38: D1D3005C 05729F4E
	v_max3_f32 v92, v80, v81, v92                              // 000000003F40: D1D3005C 0572A350
	v_max3_f32 v92, v82, v83, v92                              // 000000003F48: D1D3005C 0572A752
	v_max3_f32 v92, v84, v85, v92                              // 000000003F50: D1D3005C 0572AB54
	v_max3_f32 v92, v86, v87, v92                              // 000000003F58: D1D3005C 0572AF56
	v_max3_f32 v92, v88, v89, v92                              // 000000003F60: D1D3005C 0572B358
	v_max3_f32 v92, v90, v91, v92                              // 000000003F68: D1D3005C 0572B75A
	v_rcp_f32_e32 v92, v92                                     // 000000003F70: 7EB8455C
	s_nop 0                                                    // 000000003F74: BF800000
	v_mul_f32_e32 v92, 0x43700000, v92                         // 000000003F78: 0AB8B8FF 43700000
	v_mov_b32_e32 v93, v92                                     // 000000003F80: 7EBA035C
	v_pk_mul_f32 v[16:17], v[92:93], v[32:33]                  // 000000003F84: D3B14010 1802415C
	v_pk_mul_f32 v[18:19], v[92:93], v[34:35]                  // 000000003F8C: D3B14012 1802455C
	v_pk_mul_f32 v[20:21], v[92:93], v[36:37]                  // 000000003F94: D3B14014 1802495C
	v_pk_mul_f32 v[22:23], v[92:93], v[38:39]                  // 000000003F9C: D3B14016 18024D5C
	v_pk_mul_f32 v[24:25], v[92:93], v[40:41]                  // 000000003FA4: D3B14018 1802515C
	v_pk_mul_f32 v[26:27], v[92:93], v[42:43]                  // 000000003FAC: D3B1401A 1802555C
	v_pk_mul_f32 v[28:29], v[92:93], v[44:45]                  // 000000003FB4: D3B1401C 1802595C
	v_pk_mul_f32 v[30:31], v[92:93], v[46:47]                  // 000000003FBC: D3B1401E 18025D5C
	v_cvt_pk_fp8_f32 v16, v16, v17                             // 000000003FC4: D2A20010 00022310
	v_cvt_pk_fp8_f32 v16, v18, v19 op_sel:[0,0,1]              // 000000003FCC: D2A24010 00022712
	v_cvt_pk_fp8_f32 v17, v20, v21                             // 000000003FD4: D2A20011 00022B14
	v_cvt_pk_fp8_f32 v17, v22, v23 op_sel:[0,0,1]              // 000000003FDC: D2A24011 00022F16
	v_cvt_pk_fp8_f32 v18, v24, v25                             // 000000003FE4: D2A20012 00023318
	v_cvt_pk_fp8_f32 v18, v26, v27 op_sel:[0,0,1]              // 000000003FEC: D2A24012 0002371A
	v_cvt_pk_fp8_f32 v19, v28, v29                             // 000000003FF4: D2A20013 00023B1C
	v_cvt_pk_fp8_f32 v19, v30, v31 op_sel:[0,0,1]              // 000000003FFC: D2A24013 00023F1E
	ds_write_b32 v126, v16 offset:2560                         // 000000004004: D81A0A00 0000107E
	ds_write_b32 v126, v17 offset:3584                         // 00000000400C: D81A0E00 0000117E
	ds_write_b32 v126, v18 offset:4608                         // 000000004014: D81A1200 0000127E
	ds_write_b32 v126, v19 offset:5632                         // 00000000401C: D81A1600 0000137E
	v_rcp_f32_e32 v70, v92                                     // 000000004024: 7E8C455C
	s_nop 0                                                    // 000000004028: BF800000
	v_mov_b32_e32 v71, v70                                     // 00000000402C: 7E8E0346
	buffer_load_dwordx4 a[72:75], v112, s[16:19], 0 offen      // 000000004030: E05C1000 80844870
	v_pk_add_f32 v[56:57], v[56:57], v[48:49]                  // 000000004038: D3B24038 18026138
	v_pk_add_f32 v[58:59], v[58:59], v[50:51]                  // 000000004040: D3B2403A 1802653A
	v_pk_add_f32 v[60:61], v[60:61], v[52:53]                  // 000000004048: D3B2403C 1802693C
	v_pk_add_f32 v[62:63], v[62:63], v[54:55]                  // 000000004050: D3B2403E 18026D3E
	s_waitcnt lgkmcnt(0)                                       // 000000004058: BF8CC07F
	s_barrier                                                  // 00000000405C: BF8A0000
	ds_read_b128 v[16:19], v127 offset:2560                    // 000000004060: D9FE0A00 1000007F
	ds_read_b128 v[20:23], v127 offset:3584                    // 000000004068: D9FE0E00 1400007F
	ds_read_b128 v[24:27], v127 offset:4608                    // 000000004070: D9FE1200 1800007F
	ds_read_b128 v[28:31], v127 offset:5632                    // 000000004078: D9FE1600 1C00007F
	buffer_load_dwordx4 a[76:79], v113, s[16:19], 0 offen      // 000000004080: E05C1000 80844C71
	s_waitcnt vmcnt(14)                                        // 000000004088: BF8C0F7E
	s_waitcnt lgkmcnt(3)                                       // 00000000408C: BF8CC37F
	v_mfma_f32_16x16x32_fp8_fp8 v[48:51], a[96:97], v[16:17], 0// 000000004090: D3F30030 0A022160
	v_mfma_f32_16x16x32_fp8_fp8 v[52:55], a[112:113], v[16:17], 0// 000000004098: D3F30034 0A022170
	v_mfma_f32_16x16x32_fp8_fp8 v[48:51], a[98:99], v[18:19], v[48:51]// 0000000040A0: D3F30030 0CC22562
	v_mfma_f32_16x16x32_fp8_fp8 v[52:55], a[114:115], v[18:19], v[52:55]// 0000000040A8: D3F30034 0CD22572
	buffer_load_dwordx4 a[80:83], v110, s[16:19], 0 offen offset:1024// 0000000040B0: E05C1400 8084506E
	s_waitcnt lgkmcnt(2)                                       // 0000000040B8: BF8CC27F
	v_mfma_f32_16x16x32_fp8_fp8 v[48:51], a[100:101], v[20:21], v[48:51]// 0000000040BC: D3F30030 0CC22964
	v_mfma_f32_16x16x32_fp8_fp8 v[52:55], a[116:117], v[20:21], v[52:55]// 0000000040C4: D3F30034 0CD22974
	v_mfma_f32_16x16x32_fp8_fp8 v[48:51], a[102:103], v[22:23], v[48:51]// 0000000040CC: D3F30030 0CC22D66
	v_mfma_f32_16x16x32_fp8_fp8 v[52:55], a[118:119], v[22:23], v[52:55]// 0000000040D4: D3F30034 0CD22D76
	buffer_load_dwordx4 a[84:87], v111, s[16:19], 0 offen offset:1024// 0000000040DC: E05C1400 8084546F
	s_waitcnt lgkmcnt(1)                                       // 0000000040E4: BF8CC17F
	v_mfma_f32_16x16x32_fp8_fp8 v[48:51], a[104:105], v[24:25], v[48:51]// 0000000040E8: D3F30030 0CC23168
	v_mfma_f32_16x16x32_fp8_fp8 v[52:55], a[120:121], v[24:25], v[52:55]// 0000000040F0: D3F30034 0CD23178
	v_mfma_f32_16x16x32_fp8_fp8 v[48:51], a[106:107], v[26:27], v[48:51]// 0000000040F8: D3F30030 0CC2356A
	v_mfma_f32_16x16x32_fp8_fp8 v[52:55], a[122:123], v[26:27], v[52:55]// 000000004100: D3F30034 0CD2357A
	buffer_load_dwordx4 a[88:91], v112, s[16:19], 0 offen offset:1024// 000000004108: E05C1400 80845870
	s_waitcnt lgkmcnt(0)                                       // 000000004110: BF8CC07F
	v_mfma_f32_16x16x32_fp8_fp8 v[48:51], a[108:109], v[28:29], v[48:51]// 000000004114: D3F30030 0CC2396C
	v_mfma_f32_16x16x32_fp8_fp8 v[52:55], a[124:125], v[28:29], v[52:55]// 00000000411C: D3F30034 0CD2397C
	v_mfma_f32_16x16x32_fp8_fp8 v[48:51], a[110:111], v[30:31], v[48:51]// 000000004124: D3F30030 0CC23D6E
	v_mfma_f32_16x16x32_fp8_fp8 v[52:55], a[126:127], v[30:31], v[52:55]// 00000000412C: D3F30034 0CD23D7E
	buffer_load_dwordx4 a[92:95], v113, s[16:19], 0 offen offset:1024// 000000004134: E05C1400 80845C71
	s_addk_i32 s56, 0x100                                      // 00000000413C: B7380100
	s_cmp_lt_i32 s56, s57                                      // 000000004140: BF043938
	s_cbranch_scc0 label_16CC                                  // 000000004144: BF84103A
	s_waitcnt vmcnt(10)                                        // 000000004148: BF8C0F7A
	v_mfma_f32_16x16x32_fp8_fp8 v[16:19], a[0:1], v[8:9], 0    // 00000000414C: D3F30010 0A021100
	s_add_u32 s12, s78, s69                                    // 000000004154: 800C454E
	s_addc_u32 s13, s79, 0                                     // 000000004158: 820D804F
	v_mfma_f32_16x16x32_fp8_fp8 v[16:19], a[2:3], v[10:11], v[16:19]// 00000000415C: D3F30010 0C421502
	buffer_load_dwordx4 a[32:35], v108, s[12:15], 0 offen      // 000000004164: E05C1000 8083206C
	v_mfma_f32_16x16x32_fp8_fp8 v[16:19], a[4:5], v[12:13], v[16:19]// 00000000416C: D3F30010 0C421904
	s_add_u32 s16, s80, s70                                    // 000000004174: 80104650
	s_addc_u32 s17, s81, 0                                     // 000000004178: 82118051
	v_mfma_f32_16x16x32_fp8_fp8 v[16:19], a[6:7], v[14:15], v[16:19]// 00000000417C: D3F30010 0C421D06
	s_add_u32 s24, s82, s71                                    // 000000004184: 80184752
	s_addc_u32 s25, s83, 0                                     // 000000004188: 82198053
	v_mfma_f32_16x16x32_fp8_fp8 v[20:23], a[8:9], v[8:9], 0    // 00000000418C: D3F30014 0A021108
	s_add_u32 s28, s84, s71                                    // 000000004194: 801C4754
	s_addc_u32 s29, s85, 0                                     // 000000004198: 821D8055
	v_mfma_f32_16x16x32_fp8_fp8 v[20:23], a[10:11], v[10:11], v[20:23]// 00000000419C: D3F30014 0C52150A
	buffer_load_dwordx4 a[36:39], v109, s[12:15], 0 offen      // 0000000041A4: E05C1000 8083246D
	v_mfma_f32_16x16x32_fp8_fp8 v[20:23], a[12:13], v[12:13], v[20:23]// 0000000041AC: D3F30014 0C52190C
	s_mul_i32 s69, s66, s62                                    // 0000000041B4: 92453E42
	s_mov_b32 s70, s69                                         // 0000000041B8: BEC60045
	v_mfma_f32_16x16x32_fp8_fp8 v[20:23], a[14:15], v[14:15], v[20:23]// 0000000041BC: D3F30014 0C521D0E
	s_mul_i32 s71, s66, s64                                    // 0000000041C4: 92474042
	v_mfma_f32_16x16x32_fp8_fp8 v[24:27], a[16:17], v[8:9], 0  // 0000000041C8: D3F30018 0A021110
	v_mfma_f32_16x16x32_fp8_fp8 v[24:27], a[18:19], v[10:11], v[24:27]// 0000000041D0: D3F30018 0C621512
	buffer_load_dwordx4 a[40:43], v108, s[12:15], 0 offen offset:1024// 0000000041D8: E05C1400 8083286C
	v_mfma_f32_16x16x32_fp8_fp8 v[24:27], a[20:21], v[12:13], v[24:27]// 0000000041E0: D3F30018 0C621914
	v_mfma_f32_16x16x32_fp8_fp8 v[24:27], a[22:23], v[14:15], v[24:27]// 0000000041E8: D3F30018 0C621D16
	v_mfma_f32_16x16x32_fp8_fp8 v[28:31], a[24:25], v[8:9], 0  // 0000000041F0: D3F3001C 0A021118
	v_mfma_f32_16x16x32_fp8_fp8 v[28:31], a[26:27], v[10:11], v[28:31]// 0000000041F8: D3F3001C 0C72151A
	buffer_load_dwordx4 a[44:47], v109, s[12:15], 0 offen offset:1024// 000000004200: E05C1400 80832C6D
	v_mfma_f32_16x16x32_fp8_fp8 v[28:31], a[28:29], v[12:13], v[28:31]// 000000004208: D3F3001C 0C72191C
	v_mfma_f32_16x16x32_fp8_fp8 v[28:31], a[30:31], v[14:15], v[28:31]// 000000004210: D3F3001C 0C721D1E
	s_waitcnt vmcnt(12)                                        // 000000004218: BF8C0F7C
	v_pk_mul_f32 v[16:17], v[64:65], v[16:17]                  // 00000000421C: D3B14010 18022140
	v_pk_mul_f32 v[18:19], v[64:65], v[18:19]                  // 000000004224: D3B14012 18022540
	v_mul_f32_dpp v16, v66, v16 row_newbcast:0 row_mask:0xf bank_mask:0xf// 00000000422C: 0A2020FA FF015042
	v_mul_f32_dpp v17, v66, v17 row_newbcast:1 row_mask:0xf bank_mask:0xf// 000000004234: 0A2222FA FF015142
	v_mul_f32_dpp v18, v66, v18 row_newbcast:2 row_mask:0xf bank_mask:0xf// 00000000423C: 0A2424FA FF015242
	v_mul_f32_dpp v19, v66, v19 row_newbcast:3 row_mask:0xf bank_mask:0xf// 000000004244: 0A2626FA FF015342
	v_pk_mul_f32 v[20:21], v[64:65], v[20:21]                  // 00000000424C: D3B14014 18022940
	v_pk_mul_f32 v[22:23], v[64:65], v[22:23]                  // 000000004254: D3B14016 18022D40
	v_mul_f32_dpp v20, v66, v20 row_newbcast:4 row_mask:0xf bank_mask:0xf// 00000000425C: 0A2828FA FF015442
	v_mul_f32_dpp v21, v66, v21 row_newbcast:5 row_mask:0xf bank_mask:0xf// 000000004264: 0A2A2AFA FF015542
	v_mul_f32_dpp v22, v66, v22 row_newbcast:6 row_mask:0xf bank_mask:0xf// 00000000426C: 0A2C2CFA FF015642
	v_mul_f32_dpp v23, v66, v23 row_newbcast:7 row_mask:0xf bank_mask:0xf// 000000004274: 0A2E2EFA FF015742
	v_pk_mul_f32 v[24:25], v[64:65], v[24:25]                  // 00000000427C: D3B14018 18023140
	v_pk_mul_f32 v[26:27], v[64:65], v[26:27]                  // 000000004284: D3B1401A 18023540
	v_mul_f32_dpp v24, v66, v24 row_newbcast:8 row_mask:0xf bank_mask:0xf// 00000000428C: 0A3030FA FF015842
	v_mul_f32_dpp v25, v66, v25 row_newbcast:9 row_mask:0xf bank_mask:0xf// 000000004294: 0A3232FA FF015942
	v_mul_f32_dpp v26, v66, v26 row_newbcast:10 row_mask:0xf bank_mask:0xf// 00000000429C: 0A3434FA FF015A42
	v_mul_f32_dpp v27, v66, v27 row_newbcast:11 row_mask:0xf bank_mask:0xf// 0000000042A4: 0A3636FA FF015B42
	v_pk_mul_f32 v[28:29], v[64:65], v[28:29]                  // 0000000042AC: D3B1401C 18023940
	v_pk_mul_f32 v[30:31], v[64:65], v[30:31]                  // 0000000042B4: D3B1401E 18023D40
	v_mul_f32_dpp v28, v66, v28 row_newbcast:12 row_mask:0xf bank_mask:0xf// 0000000042BC: 0A3838FA FF015C42
	v_mul_f32_dpp v29, v66, v29 row_newbcast:13 row_mask:0xf bank_mask:0xf// 0000000042C4: 0A3A3AFA FF015D42
	v_mul_f32_dpp v30, v66, v30 row_newbcast:14 row_mask:0xf bank_mask:0xf// 0000000042CC: 0A3C3CFA FF015E42
	v_mul_f32_dpp v31, v66, v31 row_newbcast:15 row_mask:0xf bank_mask:0xf// 0000000042D4: 0A3E3EFA FF015F42
	buffer_load_dwordx4 a[48:51], v108, s[12:15], 0 offen offset:2048// 0000000042DC: E05C1800 8083306C
	v_mov_b32_e32 v92, v16                                     // 0000000042E4: 7EB80310
	v_max3_f32 v92, v16, v17, v92                              // 0000000042E8: D1D3005C 05722310
	v_max3_f32 v92, v18, v19, v92                              // 0000000042F0: D1D3005C 05722712
	v_max3_f32 v92, v20, v21, v92                              // 0000000042F8: D1D3005C 05722B14
	v_max3_f32 v92, v22, v23, v92                              // 000000004300: D1D3005C 05722F16
	v_max3_f32 v92, v24, v25, v92                              // 000000004308: D1D3005C 05723318
	v_max3_f32 v92, v26, v27, v92                              // 000000004310: D1D3005C 0572371A
	v_max3_f32 v92, v28, v29, v92                              // 000000004318: D1D3005C 05723B1C
	v_max3_f32 v92, v30, v31, v92                              // 000000004320: D1D3005C 05723F1E
	ds_write_b32 v124, v92                                     // 000000004328: D81A0000 00005C7C
	v_pk_mul_f32 v[56:57], v[94:95], v[56:57]                  // 000000004330: D3B14038 1802715E
	v_pk_mul_f32 v[58:59], v[94:95], v[58:59]                  // 000000004338: D3B1403A 1802755E
	v_pk_mul_f32 v[60:61], v[94:95], v[60:61]                  // 000000004340: D3B1403C 1802795E
	v_pk_mul_f32 v[62:63], v[94:95], v[62:63]                  // 000000004348: D3B1403E 18027D5E
	buffer_load_dwordx4 a[52:55], v109, s[12:15], 0 offen offset:2048// 000000004350: E05C1800 8083346D
	s_waitcnt lgkmcnt(0)                                       // 000000004358: BF8CC07F
	s_barrier                                                  // 00000000435C: BF8A0000
	ds_read_b32 v76, v125                                      // 000000004360: D86C0000 4C00007D
	ds_read_b32 v77, v125 offset:64                            // 000000004368: D86C0040 4D00007D
	ds_read_b32 v78, v125 offset:128                           // 000000004370: D86C0080 4E00007D
	ds_read_b32 v79, v125 offset:192                           // 000000004378: D86C00C0 4F00007D
	ds_read_b32 v80, v125 offset:256                           // 000000004380: D86C0100 5000007D
	ds_read_b32 v81, v125 offset:320                           // 000000004388: D86C0140 5100007D
	ds_read_b32 v82, v125 offset:384                           // 000000004390: D86C0180 5200007D
	ds_read_b32 v83, v125 offset:448                           // 000000004398: D86C01C0 5300007D
	ds_read_b32 v84, v125 offset:512                           // 0000000043A0: D86C0200 5400007D
	ds_read_b32 v85, v125 offset:576                           // 0000000043A8: D86C0240 5500007D
	ds_read_b32 v86, v125 offset:640                           // 0000000043B0: D86C0280 5600007D
	ds_read_b32 v87, v125 offset:704                           // 0000000043B8: D86C02C0 5700007D
	ds_read_b32 v88, v125 offset:768                           // 0000000043C0: D86C0300 5800007D
	ds_read_b32 v89, v125 offset:832                           // 0000000043C8: D86C0340 5900007D
	ds_read_b32 v90, v125 offset:896                           // 0000000043D0: D86C0380 5A00007D
	ds_read_b32 v91, v125 offset:960                           // 0000000043D8: D86C03C0 5B00007D
	buffer_load_dwordx4 a[60:63], v109, s[12:15], 0 offen offset:3072// 0000000043E0: E05C1C00 80833C6D
	v_pk_mul_f32 v[48:49], v[70:71], v[48:49]                  // 0000000043E8: D3B14030 18026146
	v_pk_mul_f32 v[50:51], v[70:71], v[50:51]                  // 0000000043F0: D3B14032 18026546
	v_pk_mul_f32 v[52:53], v[70:71], v[52:53]                  // 0000000043F8: D3B14034 18026946
	v_pk_mul_f32 v[54:55], v[70:71], v[54:55]                  // 000000004400: D3B14036 18026D46
	buffer_load_dwordx4 a[56:59], v108, s[12:15], 0 offen offset:3072// 000000004408: E05C1C00 8083386C
	s_waitcnt lgkmcnt(0)                                       // 000000004410: BF8CC07F
	v_max3_f32 v92, v76, v77, v92                              // 000000004414: D1D3005C 05729B4C
	v_max3_f32 v92, v78, v79, v92                              // 00000000441C: D1D3005C 05729F4E
	v_max3_f32 v92, v80, v81, v92                              // 000000004424: D1D3005C 0572A350
	v_max3_f32 v92, v82, v83, v92                              // 00000000442C: D1D3005C 0572A752
	v_max3_f32 v92, v84, v85, v92                              // 000000004434: D1D3005C 0572AB54
	v_max3_f32 v92, v86, v87, v92                              // 00000000443C: D1D3005C 0572AF56
	v_max3_f32 v92, v88, v89, v92                              // 000000004444: D1D3005C 0572B358
	v_max3_f32 v92, v90, v91, v92                              // 00000000444C: D1D3005C 0572B75A
	v_max_f32_e32 v97, v92, v96                                // 000000004454: 16C2C15C
	v_mul_f32_e64 v72, -s58, v97                               // 000000004458: D1050048 2002C23A
	v_mov_b32_e32 v73, v72                                     // 000000004460: 7E920348
	v_pk_fma_f32 v[16:17], v[16:17], s[88:89], v[72:73]        // 000000004464: D3B04010 1D20B110
	v_pk_fma_f32 v[18:19], v[18:19], s[88:89], v[72:73]        // 00000000446C: D3B04012 1D20B112
	v_exp_f32_e32 v16, v16                                     // 000000004474: 7E204110
	v_exp_f32_e32 v17, v17                                     // 000000004478: 7E224111
	v_exp_f32_e32 v18, v18                                     // 00000000447C: 7E244112
	v_exp_f32_e32 v19, v19                                     // 000000004480: 7E264113
	v_pk_fma_f32 v[20:21], v[20:21], s[88:89], v[72:73]        // 000000004484: D3B04014 1D20B114
	v_pk_fma_f32 v[22:23], v[22:23], s[88:89], v[72:73]        // 00000000448C: D3B04016 1D20B116
	v_exp_f32_e32 v20, v20                                     // 000000004494: 7E284114
	v_exp_f32_e32 v21, v21                                     // 000000004498: 7E2A4115
	v_exp_f32_e32 v22, v22                                     // 00000000449C: 7E2C4116
	v_exp_f32_e32 v23, v23                                     // 0000000044A0: 7E2E4117
	v_pk_fma_f32 v[24:25], v[24:25], s[88:89], v[72:73]        // 0000000044A4: D3B04018 1D20B118
	v_pk_fma_f32 v[26:27], v[26:27], s[88:89], v[72:73]        // 0000000044AC: D3B0401A 1D20B11A
	v_exp_f32_e32 v24, v24                                     // 0000000044B4: 7E304118
	v_exp_f32_e32 v25, v25                                     // 0000000044B8: 7E324119
	v_exp_f32_e32 v26, v26                                     // 0000000044BC: 7E34411A
	v_exp_f32_e32 v27, v27                                     // 0000000044C0: 7E36411B
	v_pk_fma_f32 v[28:29], v[28:29], s[88:89], v[72:73]        // 0000000044C4: D3B0401C 1D20B11C
	v_pk_fma_f32 v[30:31], v[30:31], s[88:89], v[72:73]        // 0000000044CC: D3B0401E 1D20B11E
	v_exp_f32_e32 v28, v28                                     // 0000000044D4: 7E38411C
	v_exp_f32_e32 v29, v29                                     // 0000000044D8: 7E3A411D
	v_exp_f32_e32 v30, v30                                     // 0000000044DC: 7E3C411E
	v_exp_f32_e32 v31, v31                                     // 0000000044E0: 7E3E411F
	v_mul_f32_dpp v32, v68, v16 row_newbcast:0 row_mask:0xf bank_mask:0xf// 0000000044E4: 0A4020FA FF015044
	v_mul_f32_dpp v33, v68, v17 row_newbcast:1 row_mask:0xf bank_mask:0xf// 0000000044EC: 0A4222FA FF015144
	v_mul_f32_dpp v34, v68, v18 row_newbcast:2 row_mask:0xf bank_mask:0xf// 0000000044F4: 0A4424FA FF015244
	v_mul_f32_dpp v35, v68, v19 row_newbcast:3 row_mask:0xf bank_mask:0xf// 0000000044FC: 0A4626FA FF015344
	v_mul_f32_dpp v36, v68, v20 row_newbcast:4 row_mask:0xf bank_mask:0xf// 000000004504: 0A4828FA FF015444
	v_mul_f32_dpp v37, v68, v21 row_newbcast:5 row_mask:0xf bank_mask:0xf// 00000000450C: 0A4A2AFA FF015544
	v_mul_f32_dpp v38, v68, v22 row_newbcast:6 row_mask:0xf bank_mask:0xf// 000000004514: 0A4C2CFA FF015644
	v_mul_f32_dpp v39, v68, v23 row_newbcast:7 row_mask:0xf bank_mask:0xf// 00000000451C: 0A4E2EFA FF015744
	v_mul_f32_dpp v40, v68, v24 row_newbcast:8 row_mask:0xf bank_mask:0xf// 000000004524: 0A5030FA FF015844
	v_mul_f32_dpp v41, v68, v25 row_newbcast:9 row_mask:0xf bank_mask:0xf// 00000000452C: 0A5232FA FF015944
	v_mul_f32_dpp v42, v68, v26 row_newbcast:10 row_mask:0xf bank_mask:0xf// 000000004534: 0A5434FA FF015A44
	v_mul_f32_dpp v43, v68, v27 row_newbcast:11 row_mask:0xf bank_mask:0xf// 00000000453C: 0A5636FA FF015B44
	v_mul_f32_dpp v44, v68, v28 row_newbcast:12 row_mask:0xf bank_mask:0xf// 000000004544: 0A5838FA FF015C44
	v_mul_f32_dpp v45, v68, v29 row_newbcast:13 row_mask:0xf bank_mask:0xf// 00000000454C: 0A5A3AFA FF015D44
	v_mul_f32_dpp v46, v68, v30 row_newbcast:14 row_mask:0xf bank_mask:0xf// 000000004554: 0A5C3CFA FF015E44
	v_mul_f32_dpp v47, v68, v31 row_newbcast:15 row_mask:0xf bank_mask:0xf// 00000000455C: 0A5E3EFA FF015F44
	v_mov_b32_e32 v92, 0x358637bd                              // 000000004564: 7EB802FF 358637BD
	v_max3_f32 v92, |v32|, |v33|, v92                          // 00000000456C: D1D3035C 05724320
	v_max3_f32 v92, |v34|, |v35|, v92                          // 000000004574: D1D3035C 05724722
	v_max3_f32 v92, |v36|, |v37|, v92                          // 00000000457C: D1D3035C 05724B24
	v_max3_f32 v92, |v38|, |v39|, v92                          // 000000004584: D1D3035C 05724F26
	v_max3_f32 v92, |v40|, |v41|, v92                          // 00000000458C: D1D3035C 05725328
	v_max3_f32 v92, |v42|, |v43|, v92                          // 000000004594: D1D3035C 0572572A
	v_max3_f32 v92, |v44|, |v45|, v92                          // 00000000459C: D1D3035C 05725B2C
	v_max3_f32 v92, |v46|, |v47|, v92                          // 0000000045A4: D1D3035C 05725F2E
	ds_write_b32 v124, v92 offset:1280                         // 0000000045AC: D81A0500 00005C7C
	buffer_load_dword v67, v114, s[24:27], 0 offen             // 0000000045B4: E0501000 80064372
	v_sub_f32_e32 v94, v96, v97                                // 0000000045BC: 04BCC360
	v_cmp_eq_u32_e64 s[86:87], v105, v96                       // 0000000045C0: D0CA0056 0002C169
	s_nop 0                                                    // 0000000045C8: BF800000
	v_cndmask_b32_e64 v94, v94, 0, s[86:87]                    // 0000000045CC: D100005E 0159015E
	v_mov_b32_e32 v96, v97                                     // 0000000045D4: 7EC00361
	v_mul_f32_e32 v94, s58, v94                                // 0000000045D8: 0ABCBC3A
	v_exp_f32_e32 v94, v94                                     // 0000000045DC: 7EBC415E
	s_nop 0                                                    // 0000000045E0: BF800000
	v_mov_b32_e32 v95, v94                                     // 0000000045E4: 7EBE035E
	buffer_load_dword v69, v115, s[28:31], 0 offen             // 0000000045E8: E0501000 80074573
	s_waitcnt lgkmcnt(0)                                       // 0000000045F0: BF8CC07F
	s_barrier                                                  // 0000000045F4: BF8A0000
	ds_read_b32 v76, v125 offset:1280                          // 0000000045F8: D86C0500 4C00007D
	ds_read_b32 v77, v125 offset:1344                          // 000000004600: D86C0540 4D00007D
	ds_read_b32 v78, v125 offset:1408                          // 000000004608: D86C0580 4E00007D
	ds_read_b32 v79, v125 offset:1472                          // 000000004610: D86C05C0 4F00007D
	ds_read_b32 v80, v125 offset:1536                          // 000000004618: D86C0600 5000007D
	ds_read_b32 v81, v125 offset:1600                          // 000000004620: D86C0640 5100007D
	ds_read_b32 v82, v125 offset:1664                          // 000000004628: D86C0680 5200007D
	ds_read_b32 v83, v125 offset:1728                          // 000000004630: D86C06C0 5300007D
	ds_read_b32 v84, v125 offset:1792                          // 000000004638: D86C0700 5400007D
	ds_read_b32 v85, v125 offset:1856                          // 000000004640: D86C0740 5500007D
	ds_read_b32 v86, v125 offset:1920                          // 000000004648: D86C0780 5600007D
	ds_read_b32 v87, v125 offset:1984                          // 000000004650: D86C07C0 5700007D
	ds_read_b32 v88, v125 offset:2048                          // 000000004658: D86C0800 5800007D
	ds_read_b32 v89, v125 offset:2112                          // 000000004660: D86C0840 5900007D
	ds_read_b32 v90, v125 offset:2176                          // 000000004668: D86C0880 5A00007D
	ds_read_b32 v91, v125 offset:2240                          // 000000004670: D86C08C0 5B00007D
	buffer_load_dwordx4 a[96:99], v110, s[16:19], 0 offen      // 000000004678: E05C1000 8084606E
	v_mul_f32_e32 v98, v94, v98                                // 000000004680: 0AC4C55E
	v_add_f32_e32 v98, v16, v98                                // 000000004684: 02C4C510
	v_add_f32_e32 v98, v17, v98                                // 000000004688: 02C4C511
	v_add_f32_e32 v98, v18, v98                                // 00000000468C: 02C4C512
	v_add_f32_e32 v98, v19, v98                                // 000000004690: 02C4C513
	v_add_f32_e32 v98, v20, v98                                // 000000004694: 02C4C514
	v_add_f32_e32 v98, v21, v98                                // 000000004698: 02C4C515
	v_add_f32_e32 v98, v22, v98                                // 00000000469C: 02C4C516
	v_add_f32_e32 v98, v23, v98                                // 0000000046A0: 02C4C517
	v_add_f32_e32 v98, v24, v98                                // 0000000046A4: 02C4C518
	v_add_f32_e32 v98, v25, v98                                // 0000000046A8: 02C4C519
	v_add_f32_e32 v98, v26, v98                                // 0000000046AC: 02C4C51A
	v_add_f32_e32 v98, v27, v98                                // 0000000046B0: 02C4C51B
	v_add_f32_e32 v98, v28, v98                                // 0000000046B4: 02C4C51C
	v_add_f32_e32 v98, v29, v98                                // 0000000046B8: 02C4C51D
	v_add_f32_e32 v98, v30, v98                                // 0000000046BC: 02C4C51E
	v_add_f32_e32 v98, v31, v98                                // 0000000046C0: 02C4C51F
	buffer_load_dwordx4 a[100:103], v111, s[16:19], 0 offen    // 0000000046C4: E05C1000 8084646F
	s_waitcnt lgkmcnt(0)                                       // 0000000046CC: BF8CC07F
	v_max3_f32 v92, v76, v77, v92                              // 0000000046D0: D1D3005C 05729B4C
	v_max3_f32 v92, v78, v79, v92                              // 0000000046D8: D1D3005C 05729F4E
	v_max3_f32 v92, v80, v81, v92                              // 0000000046E0: D1D3005C 0572A350
	v_max3_f32 v92, v82, v83, v92                              // 0000000046E8: D1D3005C 0572A752
	v_max3_f32 v92, v84, v85, v92                              // 0000000046F0: D1D3005C 0572AB54
	v_max3_f32 v92, v86, v87, v92                              // 0000000046F8: D1D3005C 0572AF56
	v_max3_f32 v92, v88, v89, v92                              // 000000004700: D1D3005C 0572B358
	v_max3_f32 v92, v90, v91, v92                              // 000000004708: D1D3005C 0572B75A
	v_rcp_f32_e32 v92, v92                                     // 000000004710: 7EB8455C
	s_nop 0                                                    // 000000004714: BF800000
	v_mul_f32_e32 v92, 0x43700000, v92                         // 000000004718: 0AB8B8FF 43700000
	v_mov_b32_e32 v93, v92                                     // 000000004720: 7EBA035C
	v_pk_mul_f32 v[16:17], v[92:93], v[32:33]                  // 000000004724: D3B14010 1802415C
	v_pk_mul_f32 v[18:19], v[92:93], v[34:35]                  // 00000000472C: D3B14012 1802455C
	v_pk_mul_f32 v[20:21], v[92:93], v[36:37]                  // 000000004734: D3B14014 1802495C
	v_pk_mul_f32 v[22:23], v[92:93], v[38:39]                  // 00000000473C: D3B14016 18024D5C
	v_pk_mul_f32 v[24:25], v[92:93], v[40:41]                  // 000000004744: D3B14018 1802515C
	v_pk_mul_f32 v[26:27], v[92:93], v[42:43]                  // 00000000474C: D3B1401A 1802555C
	v_pk_mul_f32 v[28:29], v[92:93], v[44:45]                  // 000000004754: D3B1401C 1802595C
	v_pk_mul_f32 v[30:31], v[92:93], v[46:47]                  // 00000000475C: D3B1401E 18025D5C
	v_cvt_pk_fp8_f32 v16, v16, v17                             // 000000004764: D2A20010 00022310
	v_cvt_pk_fp8_f32 v16, v18, v19 op_sel:[0,0,1]              // 00000000476C: D2A24010 00022712
	v_cvt_pk_fp8_f32 v17, v20, v21                             // 000000004774: D2A20011 00022B14
	v_cvt_pk_fp8_f32 v17, v22, v23 op_sel:[0,0,1]              // 00000000477C: D2A24011 00022F16
	v_cvt_pk_fp8_f32 v18, v24, v25                             // 000000004784: D2A20012 00023318
	v_cvt_pk_fp8_f32 v18, v26, v27 op_sel:[0,0,1]              // 00000000478C: D2A24012 0002371A
	v_cvt_pk_fp8_f32 v19, v28, v29                             // 000000004794: D2A20013 00023B1C
	v_cvt_pk_fp8_f32 v19, v30, v31 op_sel:[0,0,1]              // 00000000479C: D2A24013 00023F1E
	ds_write_b32 v126, v16 offset:2560                         // 0000000047A4: D81A0A00 0000107E
	ds_write_b32 v126, v17 offset:3584                         // 0000000047AC: D81A0E00 0000117E
	ds_write_b32 v126, v18 offset:4608                         // 0000000047B4: D81A1200 0000127E
	ds_write_b32 v126, v19 offset:5632                         // 0000000047BC: D81A1600 0000137E
	v_rcp_f32_e32 v70, v92                                     // 0000000047C4: 7E8C455C
	s_nop 0                                                    // 0000000047C8: BF800000
	v_mov_b32_e32 v71, v70                                     // 0000000047CC: 7E8E0346
	buffer_load_dwordx4 a[104:107], v112, s[16:19], 0 offen    // 0000000047D0: E05C1000 80846870
	v_pk_add_f32 v[56:57], v[56:57], v[48:49]                  // 0000000047D8: D3B24038 18026138
	v_pk_add_f32 v[58:59], v[58:59], v[50:51]                  // 0000000047E0: D3B2403A 1802653A
	v_pk_add_f32 v[60:61], v[60:61], v[52:53]                  // 0000000047E8: D3B2403C 1802693C
	v_pk_add_f32 v[62:63], v[62:63], v[54:55]                  // 0000000047F0: D3B2403E 18026D3E
	s_waitcnt lgkmcnt(0)                                       // 0000000047F8: BF8CC07F
	s_barrier                                                  // 0000000047FC: BF8A0000
	ds_read_b128 v[16:19], v127 offset:2560                    // 000000004800: D9FE0A00 1000007F
	ds_read_b128 v[20:23], v127 offset:3584                    // 000000004808: D9FE0E00 1400007F
	ds_read_b128 v[24:27], v127 offset:4608                    // 000000004810: D9FE1200 1800007F
	ds_read_b128 v[28:31], v127 offset:5632                    // 000000004818: D9FE1600 1C00007F
	buffer_load_dwordx4 a[108:111], v113, s[16:19], 0 offen    // 000000004820: E05C1000 80846C71
	s_waitcnt vmcnt(14)                                        // 000000004828: BF8C0F7E
	s_waitcnt lgkmcnt(3)                                       // 00000000482C: BF8CC37F
	v_mfma_f32_16x16x32_fp8_fp8 v[48:51], a[64:65], v[16:17], 0// 000000004830: D3F30030 0A022140
	v_mfma_f32_16x16x32_fp8_fp8 v[52:55], a[80:81], v[16:17], 0// 000000004838: D3F30034 0A022150
	v_mfma_f32_16x16x32_fp8_fp8 v[48:51], a[66:67], v[18:19], v[48:51]// 000000004840: D3F30030 0CC22542
	v_mfma_f32_16x16x32_fp8_fp8 v[52:55], a[82:83], v[18:19], v[52:55]// 000000004848: D3F30034 0CD22552
	buffer_load_dwordx4 a[112:115], v110, s[16:19], 0 offen offset:1024// 000000004850: E05C1400 8084706E
	s_waitcnt lgkmcnt(2)                                       // 000000004858: BF8CC27F
	v_mfma_f32_16x16x32_fp8_fp8 v[48:51], a[68:69], v[20:21], v[48:51]// 00000000485C: D3F30030 0CC22944
	v_mfma_f32_16x16x32_fp8_fp8 v[52:55], a[84:85], v[20:21], v[52:55]// 000000004864: D3F30034 0CD22954
	v_mfma_f32_16x16x32_fp8_fp8 v[48:51], a[70:71], v[22:23], v[48:51]// 00000000486C: D3F30030 0CC22D46
	v_mfma_f32_16x16x32_fp8_fp8 v[52:55], a[86:87], v[22:23], v[52:55]// 000000004874: D3F30034 0CD22D56
	buffer_load_dwordx4 a[116:119], v111, s[16:19], 0 offen offset:1024// 00000000487C: E05C1400 8084746F
	s_waitcnt lgkmcnt(1)                                       // 000000004884: BF8CC17F
	v_mfma_f32_16x16x32_fp8_fp8 v[48:51], a[72:73], v[24:25], v[48:51]// 000000004888: D3F30030 0CC23148
	v_mfma_f32_16x16x32_fp8_fp8 v[52:55], a[88:89], v[24:25], v[52:55]// 000000004890: D3F30034 0CD23158
	v_mfma_f32_16x16x32_fp8_fp8 v[48:51], a[74:75], v[26:27], v[48:51]// 000000004898: D3F30030 0CC2354A
	v_mfma_f32_16x16x32_fp8_fp8 v[52:55], a[90:91], v[26:27], v[52:55]// 0000000048A0: D3F30034 0CD2355A
	buffer_load_dwordx4 a[120:123], v112, s[16:19], 0 offen offset:1024// 0000000048A8: E05C1400 80847870
	s_waitcnt lgkmcnt(0)                                       // 0000000048B0: BF8CC07F
	v_mfma_f32_16x16x32_fp8_fp8 v[48:51], a[76:77], v[28:29], v[48:51]// 0000000048B4: D3F30030 0CC2394C
	v_mfma_f32_16x16x32_fp8_fp8 v[52:55], a[92:93], v[28:29], v[52:55]// 0000000048BC: D3F30034 0CD2395C
	v_mfma_f32_16x16x32_fp8_fp8 v[48:51], a[78:79], v[30:31], v[48:51]// 0000000048C4: D3F30030 0CC23D4E
	v_mfma_f32_16x16x32_fp8_fp8 v[52:55], a[94:95], v[30:31], v[52:55]// 0000000048CC: D3F30034 0CD23D5E
	buffer_load_dwordx4 a[124:127], v113, s[16:19], 0 offen offset:1024// 0000000048D4: E05C1400 80847C71
	s_addk_i32 s56, 0x100                                      // 0000000048DC: B7380100
	s_cmp_lt_i32 s56, s57                                      // 0000000048E0: BF043938
	s_cbranch_scc0 label_1921                                  // 0000000048E4: BF8410A7
	s_waitcnt vmcnt(10)                                        // 0000000048E8: BF8C0F7A
	v_mfma_f32_16x16x32_fp8_fp8 v[16:19], a[32:33], v[8:9], 0  // 0000000048EC: D3F30010 0A021120
	s_add_u32 s12, s78, s69                                    // 0000000048F4: 800C454E
	s_addc_u32 s13, s79, 0                                     // 0000000048F8: 820D804F
	v_mfma_f32_16x16x32_fp8_fp8 v[16:19], a[34:35], v[10:11], v[16:19]// 0000000048FC: D3F30010 0C421522
	buffer_load_dwordx4 a[0:3], v108, s[12:15], 0 offen        // 000000004904: E05C1000 8083006C
	v_mfma_f32_16x16x32_fp8_fp8 v[16:19], a[36:37], v[12:13], v[16:19]// 00000000490C: D3F30010 0C421924
	s_add_u32 s16, s80, s70                                    // 000000004914: 80104650
	s_addc_u32 s17, s81, 0                                     // 000000004918: 82118051
	v_mfma_f32_16x16x32_fp8_fp8 v[16:19], a[38:39], v[14:15], v[16:19]// 00000000491C: D3F30010 0C421D26
	s_add_u32 s24, s82, s71                                    // 000000004924: 80184752
	s_addc_u32 s25, s83, 0                                     // 000000004928: 82198053
	v_mfma_f32_16x16x32_fp8_fp8 v[20:23], a[40:41], v[8:9], 0  // 00000000492C: D3F30014 0A021128
	s_add_u32 s28, s84, s71                                    // 000000004934: 801C4754
	s_addc_u32 s29, s85, 0                                     // 000000004938: 821D8055
	v_mfma_f32_16x16x32_fp8_fp8 v[20:23], a[42:43], v[10:11], v[20:23]// 00000000493C: D3F30014 0C52152A
	buffer_load_dwordx4 a[4:7], v109, s[12:15], 0 offen        // 000000004944: E05C1000 8083046D
	v_mfma_f32_16x16x32_fp8_fp8 v[20:23], a[44:45], v[12:13], v[20:23]// 00000000494C: D3F30014 0C52192C
	s_add_u32 s69, s69, 0x1000                                 // 000000004954: 8045FF45 00001000
	s_add_u32 s70, s70, 0x8000                                 // 00000000495C: 8046FF46 00008000
	v_mfma_f32_16x16x32_fp8_fp8 v[20:23], a[46:47], v[14:15], v[20:23]// 000000004964: D3F30014 0C521D2E
	s_add_u32 s71, s71, 0x400                                  // 00000000496C: 8047FF47 00000400
	v_mfma_f32_16x16x32_fp8_fp8 v[24:27], a[48:49], v[8:9], 0  // 000000004974: D3F30018 0A021130
	v_mfma_f32_16x16x32_fp8_fp8 v[24:27], a[50:51], v[10:11], v[24:27]// 00000000497C: D3F30018 0C621532
	buffer_load_dwordx4 a[8:11], v108, s[12:15], 0 offen offset:1024// 000000004984: E05C1400 8083086C
	v_mfma_f32_16x16x32_fp8_fp8 v[24:27], a[52:53], v[12:13], v[24:27]// 00000000498C: D3F30018 0C621934
	v_mfma_f32_16x16x32_fp8_fp8 v[24:27], a[54:55], v[14:15], v[24:27]// 000000004994: D3F30018 0C621D36
	v_mfma_f32_16x16x32_fp8_fp8 v[28:31], a[56:57], v[8:9], 0  // 00000000499C: D3F3001C 0A021138
	v_mfma_f32_16x16x32_fp8_fp8 v[28:31], a[58:59], v[10:11], v[28:31]// 0000000049A4: D3F3001C 0C72153A
	buffer_load_dwordx4 a[12:15], v109, s[12:15], 0 offen offset:1024// 0000000049AC: E05C1400 80830C6D
	v_mfma_f32_16x16x32_fp8_fp8 v[28:31], a[60:61], v[12:13], v[28:31]// 0000000049B4: D3F3001C 0C72193C
	v_mfma_f32_16x16x32_fp8_fp8 v[28:31], a[62:63], v[14:15], v[28:31]// 0000000049BC: D3F3001C 0C721D3E
	s_waitcnt vmcnt(12)                                        // 0000000049C4: BF8C0F7C
	v_pk_mul_f32 v[16:17], v[64:65], v[16:17]                  // 0000000049C8: D3B14010 18022140
	v_pk_mul_f32 v[18:19], v[64:65], v[18:19]                  // 0000000049D0: D3B14012 18022540
	v_mul_f32_dpp v16, v67, v16 row_newbcast:0 row_mask:0xf bank_mask:0xf// 0000000049D8: 0A2020FA FF015043
	v_mul_f32_dpp v17, v67, v17 row_newbcast:1 row_mask:0xf bank_mask:0xf// 0000000049E0: 0A2222FA FF015143
	v_mul_f32_dpp v18, v67, v18 row_newbcast:2 row_mask:0xf bank_mask:0xf// 0000000049E8: 0A2424FA FF015243
	v_mul_f32_dpp v19, v67, v19 row_newbcast:3 row_mask:0xf bank_mask:0xf// 0000000049F0: 0A2626FA FF015343
	v_pk_mul_f32 v[20:21], v[64:65], v[20:21]                  // 0000000049F8: D3B14014 18022940
	v_pk_mul_f32 v[22:23], v[64:65], v[22:23]                  // 000000004A00: D3B14016 18022D40
	v_mul_f32_dpp v20, v67, v20 row_newbcast:4 row_mask:0xf bank_mask:0xf// 000000004A08: 0A2828FA FF015443
	v_mul_f32_dpp v21, v67, v21 row_newbcast:5 row_mask:0xf bank_mask:0xf// 000000004A10: 0A2A2AFA FF015543
	v_mul_f32_dpp v22, v67, v22 row_newbcast:6 row_mask:0xf bank_mask:0xf// 000000004A18: 0A2C2CFA FF015643
	v_mul_f32_dpp v23, v67, v23 row_newbcast:7 row_mask:0xf bank_mask:0xf// 000000004A20: 0A2E2EFA FF015743
	v_pk_mul_f32 v[24:25], v[64:65], v[24:25]                  // 000000004A28: D3B14018 18023140
	v_pk_mul_f32 v[26:27], v[64:65], v[26:27]                  // 000000004A30: D3B1401A 18023540
	v_mul_f32_dpp v24, v67, v24 row_newbcast:8 row_mask:0xf bank_mask:0xf// 000000004A38: 0A3030FA FF015843
	v_mul_f32_dpp v25, v67, v25 row_newbcast:9 row_mask:0xf bank_mask:0xf// 000000004A40: 0A3232FA FF015943
	v_mul_f32_dpp v26, v67, v26 row_newbcast:10 row_mask:0xf bank_mask:0xf// 000000004A48: 0A3434FA FF015A43
	v_mul_f32_dpp v27, v67, v27 row_newbcast:11 row_mask:0xf bank_mask:0xf// 000000004A50: 0A3636FA FF015B43
	v_pk_mul_f32 v[28:29], v[64:65], v[28:29]                  // 000000004A58: D3B1401C 18023940
	v_pk_mul_f32 v[30:31], v[64:65], v[30:31]                  // 000000004A60: D3B1401E 18023D40
	v_mul_f32_dpp v28, v67, v28 row_newbcast:12 row_mask:0xf bank_mask:0xf// 000000004A68: 0A3838FA FF015C43
	v_mul_f32_dpp v29, v67, v29 row_newbcast:13 row_mask:0xf bank_mask:0xf// 000000004A70: 0A3A3AFA FF015D43
	v_mul_f32_dpp v30, v67, v30 row_newbcast:14 row_mask:0xf bank_mask:0xf// 000000004A78: 0A3C3CFA FF015E43
	v_mul_f32_dpp v31, v67, v31 row_newbcast:15 row_mask:0xf bank_mask:0xf// 000000004A80: 0A3E3EFA FF015F43
	buffer_load_dwordx4 a[16:19], v108, s[12:15], 0 offen offset:2048// 000000004A88: E05C1800 8083106C
	v_mov_b32_e32 v92, v16                                     // 000000004A90: 7EB80310
	v_max3_f32 v92, v16, v17, v92                              // 000000004A94: D1D3005C 05722310
	v_max3_f32 v92, v18, v19, v92                              // 000000004A9C: D1D3005C 05722712
	v_max3_f32 v92, v20, v21, v92                              // 000000004AA4: D1D3005C 05722B14
	v_max3_f32 v92, v22, v23, v92                              // 000000004AAC: D1D3005C 05722F16
	v_max3_f32 v92, v24, v25, v92                              // 000000004AB4: D1D3005C 05723318
	v_max3_f32 v92, v26, v27, v92                              // 000000004ABC: D1D3005C 0572371A
	v_max3_f32 v92, v28, v29, v92                              // 000000004AC4: D1D3005C 05723B1C
	v_max3_f32 v92, v30, v31, v92                              // 000000004ACC: D1D3005C 05723F1E
	ds_write_b32 v124, v92                                     // 000000004AD4: D81A0000 00005C7C
	v_pk_mul_f32 v[56:57], v[94:95], v[56:57]                  // 000000004ADC: D3B14038 1802715E
	v_pk_mul_f32 v[58:59], v[94:95], v[58:59]                  // 000000004AE4: D3B1403A 1802755E
	v_pk_mul_f32 v[60:61], v[94:95], v[60:61]                  // 000000004AEC: D3B1403C 1802795E
	v_pk_mul_f32 v[62:63], v[94:95], v[62:63]                  // 000000004AF4: D3B1403E 18027D5E
	buffer_load_dwordx4 a[20:23], v109, s[12:15], 0 offen offset:2048// 000000004AFC: E05C1800 8083146D
	s_waitcnt lgkmcnt(0)                                       // 000000004B04: BF8CC07F
	s_barrier                                                  // 000000004B08: BF8A0000
	ds_read_b32 v76, v125                                      // 000000004B0C: D86C0000 4C00007D
	ds_read_b32 v77, v125 offset:64                            // 000000004B14: D86C0040 4D00007D
	ds_read_b32 v78, v125 offset:128                           // 000000004B1C: D86C0080 4E00007D
	ds_read_b32 v79, v125 offset:192                           // 000000004B24: D86C00C0 4F00007D
	ds_read_b32 v80, v125 offset:256                           // 000000004B2C: D86C0100 5000007D
	ds_read_b32 v81, v125 offset:320                           // 000000004B34: D86C0140 5100007D
	ds_read_b32 v82, v125 offset:384                           // 000000004B3C: D86C0180 5200007D
	ds_read_b32 v83, v125 offset:448                           // 000000004B44: D86C01C0 5300007D
	ds_read_b32 v84, v125 offset:512                           // 000000004B4C: D86C0200 5400007D
	ds_read_b32 v85, v125 offset:576                           // 000000004B54: D86C0240 5500007D
	ds_read_b32 v86, v125 offset:640                           // 000000004B5C: D86C0280 5600007D
	ds_read_b32 v87, v125 offset:704                           // 000000004B64: D86C02C0 5700007D
	ds_read_b32 v88, v125 offset:768                           // 000000004B6C: D86C0300 5800007D
	ds_read_b32 v89, v125 offset:832                           // 000000004B74: D86C0340 5900007D
	ds_read_b32 v90, v125 offset:896                           // 000000004B7C: D86C0380 5A00007D
	ds_read_b32 v91, v125 offset:960                           // 000000004B84: D86C03C0 5B00007D
	buffer_load_dwordx4 a[28:31], v109, s[12:15], 0 offen offset:3072// 000000004B8C: E05C1C00 80831C6D
	v_pk_mul_f32 v[48:49], v[70:71], v[48:49]                  // 000000004B94: D3B14030 18026146
	v_pk_mul_f32 v[50:51], v[70:71], v[50:51]                  // 000000004B9C: D3B14032 18026546
	v_pk_mul_f32 v[52:53], v[70:71], v[52:53]                  // 000000004BA4: D3B14034 18026946
	v_pk_mul_f32 v[54:55], v[70:71], v[54:55]                  // 000000004BAC: D3B14036 18026D46
	buffer_load_dwordx4 a[24:27], v108, s[12:15], 0 offen offset:3072// 000000004BB4: E05C1C00 8083186C
	s_waitcnt lgkmcnt(0)                                       // 000000004BBC: BF8CC07F
	v_max3_f32 v92, v76, v77, v92                              // 000000004BC0: D1D3005C 05729B4C
	v_max3_f32 v92, v78, v79, v92                              // 000000004BC8: D1D3005C 05729F4E
	v_max3_f32 v92, v80, v81, v92                              // 000000004BD0: D1D3005C 0572A350
	v_max3_f32 v92, v82, v83, v92                              // 000000004BD8: D1D3005C 0572A752
	v_max3_f32 v92, v84, v85, v92                              // 000000004BE0: D1D3005C 0572AB54
	v_max3_f32 v92, v86, v87, v92                              // 000000004BE8: D1D3005C 0572AF56
	v_max3_f32 v92, v88, v89, v92                              // 000000004BF0: D1D3005C 0572B358
	v_max3_f32 v92, v90, v91, v92                              // 000000004BF8: D1D3005C 0572B75A
	v_max_f32_e32 v97, v92, v96                                // 000000004C00: 16C2C15C
	v_mul_f32_e64 v72, -s58, v97                               // 000000004C04: D1050048 2002C23A
	v_mov_b32_e32 v73, v72                                     // 000000004C0C: 7E920348
	v_pk_fma_f32 v[16:17], v[16:17], s[88:89], v[72:73]        // 000000004C10: D3B04010 1D20B110
	v_pk_fma_f32 v[18:19], v[18:19], s[88:89], v[72:73]        // 000000004C18: D3B04012 1D20B112
	v_exp_f32_e32 v16, v16                                     // 000000004C20: 7E204110
	v_exp_f32_e32 v17, v17                                     // 000000004C24: 7E224111
	v_exp_f32_e32 v18, v18                                     // 000000004C28: 7E244112
	v_exp_f32_e32 v19, v19                                     // 000000004C2C: 7E264113
	v_pk_fma_f32 v[20:21], v[20:21], s[88:89], v[72:73]        // 000000004C30: D3B04014 1D20B114
	v_pk_fma_f32 v[22:23], v[22:23], s[88:89], v[72:73]        // 000000004C38: D3B04016 1D20B116
	v_exp_f32_e32 v20, v20                                     // 000000004C40: 7E284114
	v_exp_f32_e32 v21, v21                                     // 000000004C44: 7E2A4115
	v_exp_f32_e32 v22, v22                                     // 000000004C48: 7E2C4116
	v_exp_f32_e32 v23, v23                                     // 000000004C4C: 7E2E4117
	v_pk_fma_f32 v[24:25], v[24:25], s[88:89], v[72:73]        // 000000004C50: D3B04018 1D20B118
	v_pk_fma_f32 v[26:27], v[26:27], s[88:89], v[72:73]        // 000000004C58: D3B0401A 1D20B11A
	v_exp_f32_e32 v24, v24                                     // 000000004C60: 7E304118
	v_exp_f32_e32 v25, v25                                     // 000000004C64: 7E324119
	v_exp_f32_e32 v26, v26                                     // 000000004C68: 7E34411A
	v_exp_f32_e32 v27, v27                                     // 000000004C6C: 7E36411B
	v_pk_fma_f32 v[28:29], v[28:29], s[88:89], v[72:73]        // 000000004C70: D3B0401C 1D20B11C
	v_pk_fma_f32 v[30:31], v[30:31], s[88:89], v[72:73]        // 000000004C78: D3B0401E 1D20B11E
	v_exp_f32_e32 v28, v28                                     // 000000004C80: 7E38411C
	v_exp_f32_e32 v29, v29                                     // 000000004C84: 7E3A411D
	v_exp_f32_e32 v30, v30                                     // 000000004C88: 7E3C411E
	v_exp_f32_e32 v31, v31                                     // 000000004C8C: 7E3E411F
	v_mul_f32_dpp v32, v69, v16 row_newbcast:0 row_mask:0xf bank_mask:0xf// 000000004C90: 0A4020FA FF015045
	v_mul_f32_dpp v33, v69, v17 row_newbcast:1 row_mask:0xf bank_mask:0xf// 000000004C98: 0A4222FA FF015145
	v_mul_f32_dpp v34, v69, v18 row_newbcast:2 row_mask:0xf bank_mask:0xf// 000000004CA0: 0A4424FA FF015245
	v_mul_f32_dpp v35, v69, v19 row_newbcast:3 row_mask:0xf bank_mask:0xf// 000000004CA8: 0A4626FA FF015345
	v_mul_f32_dpp v36, v69, v20 row_newbcast:4 row_mask:0xf bank_mask:0xf// 000000004CB0: 0A4828FA FF015445
	v_mul_f32_dpp v37, v69, v21 row_newbcast:5 row_mask:0xf bank_mask:0xf// 000000004CB8: 0A4A2AFA FF015545
	v_mul_f32_dpp v38, v69, v22 row_newbcast:6 row_mask:0xf bank_mask:0xf// 000000004CC0: 0A4C2CFA FF015645
	v_mul_f32_dpp v39, v69, v23 row_newbcast:7 row_mask:0xf bank_mask:0xf// 000000004CC8: 0A4E2EFA FF015745
	v_mul_f32_dpp v40, v69, v24 row_newbcast:8 row_mask:0xf bank_mask:0xf// 000000004CD0: 0A5030FA FF015845
	v_mul_f32_dpp v41, v69, v25 row_newbcast:9 row_mask:0xf bank_mask:0xf// 000000004CD8: 0A5232FA FF015945
	v_mul_f32_dpp v42, v69, v26 row_newbcast:10 row_mask:0xf bank_mask:0xf// 000000004CE0: 0A5434FA FF015A45
	v_mul_f32_dpp v43, v69, v27 row_newbcast:11 row_mask:0xf bank_mask:0xf// 000000004CE8: 0A5636FA FF015B45
	v_mul_f32_dpp v44, v69, v28 row_newbcast:12 row_mask:0xf bank_mask:0xf// 000000004CF0: 0A5838FA FF015C45
	v_mul_f32_dpp v45, v69, v29 row_newbcast:13 row_mask:0xf bank_mask:0xf// 000000004CF8: 0A5A3AFA FF015D45
	v_mul_f32_dpp v46, v69, v30 row_newbcast:14 row_mask:0xf bank_mask:0xf// 000000004D00: 0A5C3CFA FF015E45
	v_mul_f32_dpp v47, v69, v31 row_newbcast:15 row_mask:0xf bank_mask:0xf// 000000004D08: 0A5E3EFA FF015F45
	v_mov_b32_e32 v92, 0x358637bd                              // 000000004D10: 7EB802FF 358637BD
	v_max3_f32 v92, |v32|, |v33|, v92                          // 000000004D18: D1D3035C 05724320
	v_max3_f32 v92, |v34|, |v35|, v92                          // 000000004D20: D1D3035C 05724722
	v_max3_f32 v92, |v36|, |v37|, v92                          // 000000004D28: D1D3035C 05724B24
	v_max3_f32 v92, |v38|, |v39|, v92                          // 000000004D30: D1D3035C 05724F26
	v_max3_f32 v92, |v40|, |v41|, v92                          // 000000004D38: D1D3035C 05725328
	v_max3_f32 v92, |v42|, |v43|, v92                          // 000000004D40: D1D3035C 0572572A
	v_max3_f32 v92, |v44|, |v45|, v92                          // 000000004D48: D1D3035C 05725B2C
	v_max3_f32 v92, |v46|, |v47|, v92                          // 000000004D50: D1D3035C 05725F2E
	ds_write_b32 v124, v92 offset:1280                         // 000000004D58: D81A0500 00005C7C
	buffer_load_dword v66, v114, s[24:27], 0 offen             // 000000004D60: E0501000 80064272
	v_sub_f32_e32 v94, v96, v97                                // 000000004D68: 04BCC360
	v_cmp_eq_u32_e64 s[86:87], v105, v96                       // 000000004D6C: D0CA0056 0002C169
	s_nop 0                                                    // 000000004D74: BF800000
	v_cndmask_b32_e64 v94, v94, 0, s[86:87]                    // 000000004D78: D100005E 0159015E
	v_mov_b32_e32 v96, v97                                     // 000000004D80: 7EC00361
	v_mul_f32_e32 v94, s58, v94                                // 000000004D84: 0ABCBC3A
	v_exp_f32_e32 v94, v94                                     // 000000004D88: 7EBC415E
	s_nop 0                                                    // 000000004D8C: BF800000
	v_mov_b32_e32 v95, v94                                     // 000000004D90: 7EBE035E
	buffer_load_dword v68, v115, s[28:31], 0 offen             // 000000004D94: E0501000 80074473
	s_waitcnt lgkmcnt(0)                                       // 000000004D9C: BF8CC07F
	s_barrier                                                  // 000000004DA0: BF8A0000
	ds_read_b32 v76, v125 offset:1280                          // 000000004DA4: D86C0500 4C00007D
	ds_read_b32 v77, v125 offset:1344                          // 000000004DAC: D86C0540 4D00007D
	ds_read_b32 v78, v125 offset:1408                          // 000000004DB4: D86C0580 4E00007D
	ds_read_b32 v79, v125 offset:1472                          // 000000004DBC: D86C05C0 4F00007D
	ds_read_b32 v80, v125 offset:1536                          // 000000004DC4: D86C0600 5000007D
	ds_read_b32 v81, v125 offset:1600                          // 000000004DCC: D86C0640 5100007D
	ds_read_b32 v82, v125 offset:1664                          // 000000004DD4: D86C0680 5200007D
	ds_read_b32 v83, v125 offset:1728                          // 000000004DDC: D86C06C0 5300007D
	ds_read_b32 v84, v125 offset:1792                          // 000000004DE4: D86C0700 5400007D
	ds_read_b32 v85, v125 offset:1856                          // 000000004DEC: D86C0740 5500007D
	ds_read_b32 v86, v125 offset:1920                          // 000000004DF4: D86C0780 5600007D
	ds_read_b32 v87, v125 offset:1984                          // 000000004DFC: D86C07C0 5700007D
	ds_read_b32 v88, v125 offset:2048                          // 000000004E04: D86C0800 5800007D
	ds_read_b32 v89, v125 offset:2112                          // 000000004E0C: D86C0840 5900007D
	ds_read_b32 v90, v125 offset:2176                          // 000000004E14: D86C0880 5A00007D
	ds_read_b32 v91, v125 offset:2240                          // 000000004E1C: D86C08C0 5B00007D
	buffer_load_dwordx4 a[64:67], v110, s[16:19], 0 offen      // 000000004E24: E05C1000 8084406E
	v_mul_f32_e32 v98, v94, v98                                // 000000004E2C: 0AC4C55E
	v_add_f32_e32 v98, v16, v98                                // 000000004E30: 02C4C510
	v_add_f32_e32 v98, v17, v98                                // 000000004E34: 02C4C511
	v_add_f32_e32 v98, v18, v98                                // 000000004E38: 02C4C512
	v_add_f32_e32 v98, v19, v98                                // 000000004E3C: 02C4C513
	v_add_f32_e32 v98, v20, v98                                // 000000004E40: 02C4C514
	v_add_f32_e32 v98, v21, v98                                // 000000004E44: 02C4C515
	v_add_f32_e32 v98, v22, v98                                // 000000004E48: 02C4C516
	v_add_f32_e32 v98, v23, v98                                // 000000004E4C: 02C4C517
	v_add_f32_e32 v98, v24, v98                                // 000000004E50: 02C4C518
	v_add_f32_e32 v98, v25, v98                                // 000000004E54: 02C4C519
	v_add_f32_e32 v98, v26, v98                                // 000000004E58: 02C4C51A
	v_add_f32_e32 v98, v27, v98                                // 000000004E5C: 02C4C51B
	v_add_f32_e32 v98, v28, v98                                // 000000004E60: 02C4C51C
	v_add_f32_e32 v98, v29, v98                                // 000000004E64: 02C4C51D
	v_add_f32_e32 v98, v30, v98                                // 000000004E68: 02C4C51E
	v_add_f32_e32 v98, v31, v98                                // 000000004E6C: 02C4C51F
	buffer_load_dwordx4 a[68:71], v111, s[16:19], 0 offen      // 000000004E70: E05C1000 8084446F
	s_waitcnt lgkmcnt(0)                                       // 000000004E78: BF8CC07F
	v_max3_f32 v92, v76, v77, v92                              // 000000004E7C: D1D3005C 05729B4C
	v_max3_f32 v92, v78, v79, v92                              // 000000004E84: D1D3005C 05729F4E
	v_max3_f32 v92, v80, v81, v92                              // 000000004E8C: D1D3005C 0572A350
	v_max3_f32 v92, v82, v83, v92                              // 000000004E94: D1D3005C 0572A752
	v_max3_f32 v92, v84, v85, v92                              // 000000004E9C: D1D3005C 0572AB54
	v_max3_f32 v92, v86, v87, v92                              // 000000004EA4: D1D3005C 0572AF56
	v_max3_f32 v92, v88, v89, v92                              // 000000004EAC: D1D3005C 0572B358
	v_max3_f32 v92, v90, v91, v92                              // 000000004EB4: D1D3005C 0572B75A
	v_rcp_f32_e32 v92, v92                                     // 000000004EBC: 7EB8455C
	s_nop 0                                                    // 000000004EC0: BF800000
	v_mul_f32_e32 v92, 0x43700000, v92                         // 000000004EC4: 0AB8B8FF 43700000
	v_mov_b32_e32 v93, v92                                     // 000000004ECC: 7EBA035C
	v_pk_mul_f32 v[16:17], v[92:93], v[32:33]                  // 000000004ED0: D3B14010 1802415C
	v_pk_mul_f32 v[18:19], v[92:93], v[34:35]                  // 000000004ED8: D3B14012 1802455C
	v_pk_mul_f32 v[20:21], v[92:93], v[36:37]                  // 000000004EE0: D3B14014 1802495C
	v_pk_mul_f32 v[22:23], v[92:93], v[38:39]                  // 000000004EE8: D3B14016 18024D5C
	v_pk_mul_f32 v[24:25], v[92:93], v[40:41]                  // 000000004EF0: D3B14018 1802515C
	v_pk_mul_f32 v[26:27], v[92:93], v[42:43]                  // 000000004EF8: D3B1401A 1802555C
	v_pk_mul_f32 v[28:29], v[92:93], v[44:45]                  // 000000004F00: D3B1401C 1802595C
	v_pk_mul_f32 v[30:31], v[92:93], v[46:47]                  // 000000004F08: D3B1401E 18025D5C
	v_cvt_pk_fp8_f32 v16, v16, v17                             // 000000004F10: D2A20010 00022310
	v_cvt_pk_fp8_f32 v16, v18, v19 op_sel:[0,0,1]              // 000000004F18: D2A24010 00022712
	v_cvt_pk_fp8_f32 v17, v20, v21                             // 000000004F20: D2A20011 00022B14
	v_cvt_pk_fp8_f32 v17, v22, v23 op_sel:[0,0,1]              // 000000004F28: D2A24011 00022F16
	v_cvt_pk_fp8_f32 v18, v24, v25                             // 000000004F30: D2A20012 00023318
	v_cvt_pk_fp8_f32 v18, v26, v27 op_sel:[0,0,1]              // 000000004F38: D2A24012 0002371A
	v_cvt_pk_fp8_f32 v19, v28, v29                             // 000000004F40: D2A20013 00023B1C
	v_cvt_pk_fp8_f32 v19, v30, v31 op_sel:[0,0,1]              // 000000004F48: D2A24013 00023F1E
	ds_write_b32 v126, v16 offset:2560                         // 000000004F50: D81A0A00 0000107E
	ds_write_b32 v126, v17 offset:3584                         // 000000004F58: D81A0E00 0000117E
	ds_write_b32 v126, v18 offset:4608                         // 000000004F60: D81A1200 0000127E
	ds_write_b32 v126, v19 offset:5632                         // 000000004F68: D81A1600 0000137E
	v_rcp_f32_e32 v70, v92                                     // 000000004F70: 7E8C455C
	s_nop 0                                                    // 000000004F74: BF800000
	v_mov_b32_e32 v71, v70                                     // 000000004F78: 7E8E0346
	buffer_load_dwordx4 a[72:75], v112, s[16:19], 0 offen      // 000000004F7C: E05C1000 80844870
	v_pk_add_f32 v[56:57], v[56:57], v[48:49]                  // 000000004F84: D3B24038 18026138
	v_pk_add_f32 v[58:59], v[58:59], v[50:51]                  // 000000004F8C: D3B2403A 1802653A
	v_pk_add_f32 v[60:61], v[60:61], v[52:53]                  // 000000004F94: D3B2403C 1802693C
	v_pk_add_f32 v[62:63], v[62:63], v[54:55]                  // 000000004F9C: D3B2403E 18026D3E
	s_waitcnt lgkmcnt(0)                                       // 000000004FA4: BF8CC07F
	s_barrier                                                  // 000000004FA8: BF8A0000
	ds_read_b128 v[16:19], v127 offset:2560                    // 000000004FAC: D9FE0A00 1000007F
	ds_read_b128 v[20:23], v127 offset:3584                    // 000000004FB4: D9FE0E00 1400007F
	ds_read_b128 v[24:27], v127 offset:4608                    // 000000004FBC: D9FE1200 1800007F
	ds_read_b128 v[28:31], v127 offset:5632                    // 000000004FC4: D9FE1600 1C00007F
	buffer_load_dwordx4 a[76:79], v113, s[16:19], 0 offen      // 000000004FCC: E05C1000 80844C71
	s_waitcnt vmcnt(14)                                        // 000000004FD4: BF8C0F7E
	s_waitcnt lgkmcnt(3)                                       // 000000004FD8: BF8CC37F
	v_mfma_f32_16x16x32_fp8_fp8 v[48:51], a[96:97], v[16:17], 0// 000000004FDC: D3F30030 0A022160
	v_mfma_f32_16x16x32_fp8_fp8 v[52:55], a[112:113], v[16:17], 0// 000000004FE4: D3F30034 0A022170
	v_mfma_f32_16x16x32_fp8_fp8 v[48:51], a[98:99], v[18:19], v[48:51]// 000000004FEC: D3F30030 0CC22562
	v_mfma_f32_16x16x32_fp8_fp8 v[52:55], a[114:115], v[18:19], v[52:55]// 000000004FF4: D3F30034 0CD22572
	buffer_load_dwordx4 a[80:83], v110, s[16:19], 0 offen offset:1024// 000000004FFC: E05C1400 8084506E
	s_waitcnt lgkmcnt(2)                                       // 000000005004: BF8CC27F
	v_mfma_f32_16x16x32_fp8_fp8 v[48:51], a[100:101], v[20:21], v[48:51]// 000000005008: D3F30030 0CC22964
	v_mfma_f32_16x16x32_fp8_fp8 v[52:55], a[116:117], v[20:21], v[52:55]// 000000005010: D3F30034 0CD22974
	v_mfma_f32_16x16x32_fp8_fp8 v[48:51], a[102:103], v[22:23], v[48:51]// 000000005018: D3F30030 0CC22D66
	v_mfma_f32_16x16x32_fp8_fp8 v[52:55], a[118:119], v[22:23], v[52:55]// 000000005020: D3F30034 0CD22D76
	buffer_load_dwordx4 a[84:87], v111, s[16:19], 0 offen offset:1024// 000000005028: E05C1400 8084546F
	s_waitcnt lgkmcnt(1)                                       // 000000005030: BF8CC17F
	v_mfma_f32_16x16x32_fp8_fp8 v[48:51], a[104:105], v[24:25], v[48:51]// 000000005034: D3F30030 0CC23168
	v_mfma_f32_16x16x32_fp8_fp8 v[52:55], a[120:121], v[24:25], v[52:55]// 00000000503C: D3F30034 0CD23178
	v_mfma_f32_16x16x32_fp8_fp8 v[48:51], a[106:107], v[26:27], v[48:51]// 000000005044: D3F30030 0CC2356A
	v_mfma_f32_16x16x32_fp8_fp8 v[52:55], a[122:123], v[26:27], v[52:55]// 00000000504C: D3F30034 0CD2357A
	buffer_load_dwordx4 a[88:91], v112, s[16:19], 0 offen offset:1024// 000000005054: E05C1400 80845870
	s_waitcnt lgkmcnt(0)                                       // 00000000505C: BF8CC07F
	v_mfma_f32_16x16x32_fp8_fp8 v[48:51], a[108:109], v[28:29], v[48:51]// 000000005060: D3F30030 0CC2396C
	v_mfma_f32_16x16x32_fp8_fp8 v[52:55], a[124:125], v[28:29], v[52:55]// 000000005068: D3F30034 0CD2397C
	v_mfma_f32_16x16x32_fp8_fp8 v[48:51], a[110:111], v[30:31], v[48:51]// 000000005070: D3F30030 0CC23D6E
	v_mfma_f32_16x16x32_fp8_fp8 v[52:55], a[126:127], v[30:31], v[52:55]// 000000005078: D3F30034 0CD23D7E
	buffer_load_dwordx4 a[92:95], v113, s[16:19], 0 offen offset:1024// 000000005080: E05C1400 80845C71
	s_addk_i32 s56, 0x100                                      // 000000005088: B7380100
	s_branch label_02B3                                        // 00000000508C: BF82F84F

0000000000005090 <label_0A64>:
	s_cmp_lt_i32 s56, s57                                      // 000000005090: BF043938
	s_cbranch_scc0 label_1215                                  // 000000005094: BF8407AF
	s_waitcnt vmcnt(10)                                        // 000000005098: BF8C0F7A
	v_mfma_f32_16x16x32_fp8_fp8 v[16:19], a[0:1], v[8:9], 0    // 00000000509C: D3F30010 0A021100
	s_add_u32 s12, s78, s69                                    // 0000000050A4: 800C454E
	s_addc_u32 s13, s79, 0                                     // 0000000050A8: 820D804F
	v_mfma_f32_16x16x32_fp8_fp8 v[16:19], a[2:3], v[10:11], v[16:19]// 0000000050AC: D3F30010 0C421502
	buffer_load_dwordx4 a[32:35], v108, s[12:15], 0 offen      // 0000000050B4: E05C1000 8083206C
	v_mfma_f32_16x16x32_fp8_fp8 v[16:19], a[4:5], v[12:13], v[16:19]// 0000000050BC: D3F30010 0C421904
	s_add_u32 s16, s80, s70                                    // 0000000050C4: 80104650
	s_addc_u32 s17, s81, 0                                     // 0000000050C8: 82118051
	v_mfma_f32_16x16x32_fp8_fp8 v[16:19], a[6:7], v[14:15], v[16:19]// 0000000050CC: D3F30010 0C421D06
	s_add_u32 s24, s82, s71                                    // 0000000050D4: 80184752
	s_addc_u32 s25, s83, 0                                     // 0000000050D8: 82198053
	v_mfma_f32_16x16x32_fp8_fp8 v[20:23], a[8:9], v[8:9], 0    // 0000000050DC: D3F30014 0A021108
	s_add_u32 s28, s84, s71                                    // 0000000050E4: 801C4754
	s_addc_u32 s29, s85, 0                                     // 0000000050E8: 821D8055
	v_mfma_f32_16x16x32_fp8_fp8 v[20:23], a[10:11], v[10:11], v[20:23]// 0000000050EC: D3F30014 0C52150A
	buffer_load_dwordx4 a[36:39], v109, s[12:15], 0 offen      // 0000000050F4: E05C1000 8083246D
	v_mfma_f32_16x16x32_fp8_fp8 v[20:23], a[12:13], v[12:13], v[20:23]// 0000000050FC: D3F30014 0C52190C
	s_add_u32 s69, s69, 0x1000                                 // 000000005104: 8045FF45 00001000
	s_add_u32 s70, s70, 0x8000                                 // 00000000510C: 8046FF46 00008000
	v_mfma_f32_16x16x32_fp8_fp8 v[20:23], a[14:15], v[14:15], v[20:23]// 000000005114: D3F30014 0C521D0E
	s_add_u32 s71, s71, 0x400                                  // 00000000511C: 8047FF47 00000400
	v_mfma_f32_16x16x32_fp8_fp8 v[24:27], a[16:17], v[8:9], 0  // 000000005124: D3F30018 0A021110
	v_mfma_f32_16x16x32_fp8_fp8 v[24:27], a[18:19], v[10:11], v[24:27]// 00000000512C: D3F30018 0C621512
	buffer_load_dwordx4 a[40:43], v108, s[12:15], 0 offen offset:1024// 000000005134: E05C1400 8083286C
	v_mfma_f32_16x16x32_fp8_fp8 v[24:27], a[20:21], v[12:13], v[24:27]// 00000000513C: D3F30018 0C621914
	v_mfma_f32_16x16x32_fp8_fp8 v[24:27], a[22:23], v[14:15], v[24:27]// 000000005144: D3F30018 0C621D16
	v_mfma_f32_16x16x32_fp8_fp8 v[28:31], a[24:25], v[8:9], 0  // 00000000514C: D3F3001C 0A021118
	v_mfma_f32_16x16x32_fp8_fp8 v[28:31], a[26:27], v[10:11], v[28:31]// 000000005154: D3F3001C 0C72151A
	buffer_load_dwordx4 a[44:47], v109, s[12:15], 0 offen offset:1024// 00000000515C: E05C1400 80832C6D
	v_mfma_f32_16x16x32_fp8_fp8 v[28:31], a[28:29], v[12:13], v[28:31]// 000000005164: D3F3001C 0C72191C
	v_mfma_f32_16x16x32_fp8_fp8 v[28:31], a[30:31], v[14:15], v[28:31]// 00000000516C: D3F3001C 0C721D1E
	s_waitcnt vmcnt(12)                                        // 000000005174: BF8C0F7C
	v_pk_mul_f32 v[16:17], v[64:65], v[16:17]                  // 000000005178: D3B14010 18022140
	v_pk_mul_f32 v[18:19], v[64:65], v[18:19]                  // 000000005180: D3B14012 18022540
	v_mul_f32_dpp v16, v66, v16 row_newbcast:0 row_mask:0xf bank_mask:0xf// 000000005188: 0A2020FA FF015042
	v_mul_f32_dpp v17, v66, v17 row_newbcast:1 row_mask:0xf bank_mask:0xf// 000000005190: 0A2222FA FF015142
	v_mul_f32_dpp v18, v66, v18 row_newbcast:2 row_mask:0xf bank_mask:0xf// 000000005198: 0A2424FA FF015242
	v_mul_f32_dpp v19, v66, v19 row_newbcast:3 row_mask:0xf bank_mask:0xf// 0000000051A0: 0A2626FA FF015342
	v_pk_mul_f32 v[20:21], v[64:65], v[20:21]                  // 0000000051A8: D3B14014 18022940
	v_pk_mul_f32 v[22:23], v[64:65], v[22:23]                  // 0000000051B0: D3B14016 18022D40
	v_mul_f32_dpp v20, v66, v20 row_newbcast:4 row_mask:0xf bank_mask:0xf// 0000000051B8: 0A2828FA FF015442
	v_mul_f32_dpp v21, v66, v21 row_newbcast:5 row_mask:0xf bank_mask:0xf// 0000000051C0: 0A2A2AFA FF015542
	v_mul_f32_dpp v22, v66, v22 row_newbcast:6 row_mask:0xf bank_mask:0xf// 0000000051C8: 0A2C2CFA FF015642
	v_mul_f32_dpp v23, v66, v23 row_newbcast:7 row_mask:0xf bank_mask:0xf// 0000000051D0: 0A2E2EFA FF015742
	v_pk_mul_f32 v[24:25], v[64:65], v[24:25]                  // 0000000051D8: D3B14018 18023140
	v_pk_mul_f32 v[26:27], v[64:65], v[26:27]                  // 0000000051E0: D3B1401A 18023540
	v_mul_f32_dpp v24, v66, v24 row_newbcast:8 row_mask:0xf bank_mask:0xf// 0000000051E8: 0A3030FA FF015842
	v_mul_f32_dpp v25, v66, v25 row_newbcast:9 row_mask:0xf bank_mask:0xf// 0000000051F0: 0A3232FA FF015942
	v_mul_f32_dpp v26, v66, v26 row_newbcast:10 row_mask:0xf bank_mask:0xf// 0000000051F8: 0A3434FA FF015A42
	v_mul_f32_dpp v27, v66, v27 row_newbcast:11 row_mask:0xf bank_mask:0xf// 000000005200: 0A3636FA FF015B42
	v_pk_mul_f32 v[28:29], v[64:65], v[28:29]                  // 000000005208: D3B1401C 18023940
	v_pk_mul_f32 v[30:31], v[64:65], v[30:31]                  // 000000005210: D3B1401E 18023D40
	v_mul_f32_dpp v28, v66, v28 row_newbcast:12 row_mask:0xf bank_mask:0xf// 000000005218: 0A3838FA FF015C42
	v_mul_f32_dpp v29, v66, v29 row_newbcast:13 row_mask:0xf bank_mask:0xf// 000000005220: 0A3A3AFA FF015D42
	v_mul_f32_dpp v30, v66, v30 row_newbcast:14 row_mask:0xf bank_mask:0xf// 000000005228: 0A3C3CFA FF015E42
	v_mul_f32_dpp v31, v66, v31 row_newbcast:15 row_mask:0xf bank_mask:0xf// 000000005230: 0A3E3EFA FF015F42
	buffer_load_dwordx4 a[48:51], v108, s[12:15], 0 offen offset:2048// 000000005238: E05C1800 8083306C
	v_mov_b32_e32 v92, v16                                     // 000000005240: 7EB80310
	v_max3_f32 v92, v16, v17, v92                              // 000000005244: D1D3005C 05722310
	v_max3_f32 v92, v18, v19, v92                              // 00000000524C: D1D3005C 05722712
	v_max3_f32 v92, v20, v21, v92                              // 000000005254: D1D3005C 05722B14
	v_max3_f32 v92, v22, v23, v92                              // 00000000525C: D1D3005C 05722F16
	v_max3_f32 v92, v24, v25, v92                              // 000000005264: D1D3005C 05723318
	v_max3_f32 v92, v26, v27, v92                              // 00000000526C: D1D3005C 0572371A
	v_max3_f32 v92, v28, v29, v92                              // 000000005274: D1D3005C 05723B1C
	v_max3_f32 v92, v30, v31, v92                              // 00000000527C: D1D3005C 05723F1E
	ds_write_b32 v124, v92                                     // 000000005284: D81A0000 00005C7C
	v_pk_mul_f32 v[56:57], v[94:95], v[56:57]                  // 00000000528C: D3B14038 1802715E
	v_pk_mul_f32 v[58:59], v[94:95], v[58:59]                  // 000000005294: D3B1403A 1802755E
	v_pk_mul_f32 v[60:61], v[94:95], v[60:61]                  // 00000000529C: D3B1403C 1802795E
	v_pk_mul_f32 v[62:63], v[94:95], v[62:63]                  // 0000000052A4: D3B1403E 18027D5E
	buffer_load_dwordx4 a[52:55], v109, s[12:15], 0 offen offset:2048// 0000000052AC: E05C1800 8083346D
	s_waitcnt lgkmcnt(0)                                       // 0000000052B4: BF8CC07F
	s_barrier                                                  // 0000000052B8: BF8A0000
	v_pk_mul_f32 v[48:49], v[70:71], v[48:49]                  // 0000000052BC: D3B14030 18026146
	v_pk_mul_f32 v[50:51], v[70:71], v[50:51]                  // 0000000052C4: D3B14032 18026546
	v_pk_mul_f32 v[52:53], v[70:71], v[52:53]                  // 0000000052CC: D3B14034 18026946
	v_pk_mul_f32 v[54:55], v[70:71], v[54:55]                  // 0000000052D4: D3B14036 18026D46
	buffer_load_dwordx4 a[56:59], v108, s[12:15], 0 offen offset:3072// 0000000052DC: E05C1C00 8083386C
	ds_read_b32 v76, v125                                      // 0000000052E4: D86C0000 4C00007D
	ds_read_b32 v77, v125 offset:64                            // 0000000052EC: D86C0040 4D00007D
	ds_read_b32 v78, v125 offset:128                           // 0000000052F4: D86C0080 4E00007D
	ds_read_b32 v79, v125 offset:192                           // 0000000052FC: D86C00C0 4F00007D
	ds_read_b32 v80, v125 offset:256                           // 000000005304: D86C0100 5000007D
	ds_read_b32 v81, v125 offset:320                           // 00000000530C: D86C0140 5100007D
	ds_read_b32 v82, v125 offset:384                           // 000000005314: D86C0180 5200007D
	ds_read_b32 v83, v125 offset:448                           // 00000000531C: D86C01C0 5300007D
	ds_read_b32 v84, v125 offset:512                           // 000000005324: D86C0200 5400007D
	ds_read_b32 v85, v125 offset:576                           // 00000000532C: D86C0240 5500007D
	ds_read_b32 v86, v125 offset:640                           // 000000005334: D86C0280 5600007D
	ds_read_b32 v87, v125 offset:704                           // 00000000533C: D86C02C0 5700007D
	ds_read_b32 v88, v125 offset:768                           // 000000005344: D86C0300 5800007D
	ds_read_b32 v89, v125 offset:832                           // 00000000534C: D86C0340 5900007D
	ds_read_b32 v90, v125 offset:896                           // 000000005354: D86C0380 5A00007D
	ds_read_b32 v91, v125 offset:960                           // 00000000535C: D86C03C0 5B00007D
	buffer_load_dwordx4 a[60:63], v109, s[12:15], 0 offen offset:3072// 000000005364: E05C1C00 80833C6D
	s_waitcnt lgkmcnt(0)                                       // 00000000536C: BF8CC07F
	v_max3_f32 v92, v76, v77, v92                              // 000000005370: D1D3005C 05729B4C
	v_max3_f32 v92, v78, v79, v92                              // 000000005378: D1D3005C 05729F4E
	v_max3_f32 v92, v80, v81, v92                              // 000000005380: D1D3005C 0572A350
	v_max3_f32 v92, v82, v83, v92                              // 000000005388: D1D3005C 0572A752
	v_max3_f32 v92, v84, v85, v92                              // 000000005390: D1D3005C 0572AB54
	v_max3_f32 v92, v86, v87, v92                              // 000000005398: D1D3005C 0572AF56
	v_max3_f32 v92, v88, v89, v92                              // 0000000053A0: D1D3005C 0572B358
	v_max3_f32 v92, v90, v91, v92                              // 0000000053A8: D1D3005C 0572B75A
	v_max_f32_e32 v97, v92, v96                                // 0000000053B0: 16C2C15C
	v_mul_f32_e64 v72, -s58, v97                               // 0000000053B4: D1050048 2002C23A
	v_mov_b32_e32 v73, v72                                     // 0000000053BC: 7E920348
	v_pk_fma_f32 v[16:17], v[16:17], s[88:89], v[72:73]        // 0000000053C0: D3B04010 1D20B110
	v_pk_fma_f32 v[18:19], v[18:19], s[88:89], v[72:73]        // 0000000053C8: D3B04012 1D20B112
	v_exp_f32_e32 v16, v16                                     // 0000000053D0: 7E204110
	v_exp_f32_e32 v17, v17                                     // 0000000053D4: 7E224111
	v_exp_f32_e32 v18, v18                                     // 0000000053D8: 7E244112
	v_exp_f32_e32 v19, v19                                     // 0000000053DC: 7E264113
	v_pk_fma_f32 v[20:21], v[20:21], s[88:89], v[72:73]        // 0000000053E0: D3B04014 1D20B114
	v_pk_fma_f32 v[22:23], v[22:23], s[88:89], v[72:73]        // 0000000053E8: D3B04016 1D20B116
	v_exp_f32_e32 v20, v20                                     // 0000000053F0: 7E284114
	v_exp_f32_e32 v21, v21                                     // 0000000053F4: 7E2A4115
	v_exp_f32_e32 v22, v22                                     // 0000000053F8: 7E2C4116
	v_exp_f32_e32 v23, v23                                     // 0000000053FC: 7E2E4117
	v_pk_fma_f32 v[24:25], v[24:25], s[88:89], v[72:73]        // 000000005400: D3B04018 1D20B118
	v_pk_fma_f32 v[26:27], v[26:27], s[88:89], v[72:73]        // 000000005408: D3B0401A 1D20B11A
	v_exp_f32_e32 v24, v24                                     // 000000005410: 7E304118
	v_exp_f32_e32 v25, v25                                     // 000000005414: 7E324119
	v_exp_f32_e32 v26, v26                                     // 000000005418: 7E34411A
	v_exp_f32_e32 v27, v27                                     // 00000000541C: 7E36411B
	v_pk_fma_f32 v[28:29], v[28:29], s[88:89], v[72:73]        // 000000005420: D3B0401C 1D20B11C
	v_pk_fma_f32 v[30:31], v[30:31], s[88:89], v[72:73]        // 000000005428: D3B0401E 1D20B11E
	v_exp_f32_e32 v28, v28                                     // 000000005430: 7E38411C
	v_exp_f32_e32 v29, v29                                     // 000000005434: 7E3A411D
	v_exp_f32_e32 v30, v30                                     // 000000005438: 7E3C411E
	v_exp_f32_e32 v31, v31                                     // 00000000543C: 7E3E411F
	v_mul_f32_dpp v32, v68, v16 row_newbcast:0 row_mask:0xf bank_mask:0xf// 000000005440: 0A4020FA FF015044
	v_mul_f32_dpp v33, v68, v17 row_newbcast:1 row_mask:0xf bank_mask:0xf// 000000005448: 0A4222FA FF015144
	v_mul_f32_dpp v34, v68, v18 row_newbcast:2 row_mask:0xf bank_mask:0xf// 000000005450: 0A4424FA FF015244
	v_mul_f32_dpp v35, v68, v19 row_newbcast:3 row_mask:0xf bank_mask:0xf// 000000005458: 0A4626FA FF015344
	v_mul_f32_dpp v36, v68, v20 row_newbcast:4 row_mask:0xf bank_mask:0xf// 000000005460: 0A4828FA FF015444
	v_mul_f32_dpp v37, v68, v21 row_newbcast:5 row_mask:0xf bank_mask:0xf// 000000005468: 0A4A2AFA FF015544
	v_mul_f32_dpp v38, v68, v22 row_newbcast:6 row_mask:0xf bank_mask:0xf// 000000005470: 0A4C2CFA FF015644
	v_mul_f32_dpp v39, v68, v23 row_newbcast:7 row_mask:0xf bank_mask:0xf// 000000005478: 0A4E2EFA FF015744
	v_mul_f32_dpp v40, v68, v24 row_newbcast:8 row_mask:0xf bank_mask:0xf// 000000005480: 0A5030FA FF015844
	v_mul_f32_dpp v41, v68, v25 row_newbcast:9 row_mask:0xf bank_mask:0xf// 000000005488: 0A5232FA FF015944
	v_mul_f32_dpp v42, v68, v26 row_newbcast:10 row_mask:0xf bank_mask:0xf// 000000005490: 0A5434FA FF015A44
	v_mul_f32_dpp v43, v68, v27 row_newbcast:11 row_mask:0xf bank_mask:0xf// 000000005498: 0A5636FA FF015B44
	v_mul_f32_dpp v44, v68, v28 row_newbcast:12 row_mask:0xf bank_mask:0xf// 0000000054A0: 0A5838FA FF015C44
	v_mul_f32_dpp v45, v68, v29 row_newbcast:13 row_mask:0xf bank_mask:0xf// 0000000054A8: 0A5A3AFA FF015D44
	v_mul_f32_dpp v46, v68, v30 row_newbcast:14 row_mask:0xf bank_mask:0xf// 0000000054B0: 0A5C3CFA FF015E44
	v_mul_f32_dpp v47, v68, v31 row_newbcast:15 row_mask:0xf bank_mask:0xf// 0000000054B8: 0A5E3EFA FF015F44
	v_mov_b32_e32 v92, 0x358637bd                              // 0000000054C0: 7EB802FF 358637BD
	v_max3_f32 v92, |v32|, |v33|, v92                          // 0000000054C8: D1D3035C 05724320
	v_max3_f32 v92, |v34|, |v35|, v92                          // 0000000054D0: D1D3035C 05724722
	v_max3_f32 v92, |v36|, |v37|, v92                          // 0000000054D8: D1D3035C 05724B24
	v_max3_f32 v92, |v38|, |v39|, v92                          // 0000000054E0: D1D3035C 05724F26
	v_max3_f32 v92, |v40|, |v41|, v92                          // 0000000054E8: D1D3035C 05725328
	v_max3_f32 v92, |v42|, |v43|, v92                          // 0000000054F0: D1D3035C 0572572A
	v_max3_f32 v92, |v44|, |v45|, v92                          // 0000000054F8: D1D3035C 05725B2C
	v_max3_f32 v92, |v46|, |v47|, v92                          // 000000005500: D1D3035C 05725F2E
	ds_write_b32 v124, v92 offset:1280                         // 000000005508: D81A0500 00005C7C
	buffer_load_dword v67, v114, s[24:27], 0 offen             // 000000005510: E0501000 80064372
	v_sub_f32_e32 v94, v96, v97                                // 000000005518: 04BCC360
	v_cmp_eq_u32_e64 s[86:87], v105, v96                       // 00000000551C: D0CA0056 0002C169
	s_nop 0                                                    // 000000005524: BF800000
	v_cndmask_b32_e64 v94, v94, 0, s[86:87]                    // 000000005528: D100005E 0159015E
	v_mov_b32_e32 v96, v97                                     // 000000005530: 7EC00361
	v_mul_f32_e32 v94, s58, v94                                // 000000005534: 0ABCBC3A
	v_exp_f32_e32 v94, v94                                     // 000000005538: 7EBC415E
	s_nop 0                                                    // 00000000553C: BF800000
	v_mov_b32_e32 v95, v94                                     // 000000005540: 7EBE035E
	buffer_load_dword v69, v115, s[28:31], 0 offen             // 000000005544: E0501000 80074573
	s_waitcnt lgkmcnt(0)                                       // 00000000554C: BF8CC07F
	s_barrier                                                  // 000000005550: BF8A0000
	v_mul_f32_e32 v98, v94, v98                                // 000000005554: 0AC4C55E
	v_add_f32_e32 v98, v16, v98                                // 000000005558: 02C4C510
	v_add_f32_e32 v98, v17, v98                                // 00000000555C: 02C4C511
	v_add_f32_e32 v98, v18, v98                                // 000000005560: 02C4C512
	v_add_f32_e32 v98, v19, v98                                // 000000005564: 02C4C513
	v_add_f32_e32 v98, v20, v98                                // 000000005568: 02C4C514
	v_add_f32_e32 v98, v21, v98                                // 00000000556C: 02C4C515
	v_add_f32_e32 v98, v22, v98                                // 000000005570: 02C4C516
	v_add_f32_e32 v98, v23, v98                                // 000000005574: 02C4C517
	v_add_f32_e32 v98, v24, v98                                // 000000005578: 02C4C518
	v_add_f32_e32 v98, v25, v98                                // 00000000557C: 02C4C519
	v_add_f32_e32 v98, v26, v98                                // 000000005580: 02C4C51A
	v_add_f32_e32 v98, v27, v98                                // 000000005584: 02C4C51B
	v_add_f32_e32 v98, v28, v98                                // 000000005588: 02C4C51C
	v_add_f32_e32 v98, v29, v98                                // 00000000558C: 02C4C51D
	v_add_f32_e32 v98, v30, v98                                // 000000005590: 02C4C51E
	v_add_f32_e32 v98, v31, v98                                // 000000005594: 02C4C51F
	buffer_load_dwordx4 a[100:103], v111, s[16:19], 0 offen    // 000000005598: E05C1000 8084646F
	ds_read_b32 v76, v125 offset:1280                          // 0000000055A0: D86C0500 4C00007D
	ds_read_b32 v77, v125 offset:1344                          // 0000000055A8: D86C0540 4D00007D
	ds_read_b32 v78, v125 offset:1408                          // 0000000055B0: D86C0580 4E00007D
	ds_read_b32 v79, v125 offset:1472                          // 0000000055B8: D86C05C0 4F00007D
	ds_read_b32 v80, v125 offset:1536                          // 0000000055C0: D86C0600 5000007D
	ds_read_b32 v81, v125 offset:1600                          // 0000000055C8: D86C0640 5100007D
	ds_read_b32 v82, v125 offset:1664                          // 0000000055D0: D86C0680 5200007D
	ds_read_b32 v83, v125 offset:1728                          // 0000000055D8: D86C06C0 5300007D
	ds_read_b32 v84, v125 offset:1792                          // 0000000055E0: D86C0700 5400007D
	ds_read_b32 v85, v125 offset:1856                          // 0000000055E8: D86C0740 5500007D
	ds_read_b32 v86, v125 offset:1920                          // 0000000055F0: D86C0780 5600007D
	ds_read_b32 v87, v125 offset:1984                          // 0000000055F8: D86C07C0 5700007D
	ds_read_b32 v88, v125 offset:2048                          // 000000005600: D86C0800 5800007D
	ds_read_b32 v89, v125 offset:2112                          // 000000005608: D86C0840 5900007D
	ds_read_b32 v90, v125 offset:2176                          // 000000005610: D86C0880 5A00007D
	ds_read_b32 v91, v125 offset:2240                          // 000000005618: D86C08C0 5B00007D
	buffer_load_dwordx4 a[96:99], v110, s[16:19], 0 offen      // 000000005620: E05C1000 8084606E
	s_waitcnt lgkmcnt(0)                                       // 000000005628: BF8CC07F
	v_max3_f32 v92, v76, v77, v92                              // 00000000562C: D1D3005C 05729B4C
	v_max3_f32 v92, v78, v79, v92                              // 000000005634: D1D3005C 05729F4E
	v_max3_f32 v92, v80, v81, v92                              // 00000000563C: D1D3005C 0572A350
	v_max3_f32 v92, v82, v83, v92                              // 000000005644: D1D3005C 0572A752
	v_max3_f32 v92, v84, v85, v92                              // 00000000564C: D1D3005C 0572AB54
	v_max3_f32 v92, v86, v87, v92                              // 000000005654: D1D3005C 0572AF56
	v_max3_f32 v92, v88, v89, v92                              // 00000000565C: D1D3005C 0572B358
	v_max3_f32 v92, v90, v91, v92                              // 000000005664: D1D3005C 0572B75A
	v_rcp_f32_e32 v92, v92                                     // 00000000566C: 7EB8455C
	s_nop 0                                                    // 000000005670: BF800000
	v_mul_f32_e32 v92, 0x43700000, v92                         // 000000005674: 0AB8B8FF 43700000
	v_mov_b32_e32 v93, v92                                     // 00000000567C: 7EBA035C
	v_pk_mul_f32 v[16:17], v[92:93], v[32:33]                  // 000000005680: D3B14010 1802415C
	v_pk_mul_f32 v[18:19], v[92:93], v[34:35]                  // 000000005688: D3B14012 1802455C
	v_pk_mul_f32 v[20:21], v[92:93], v[36:37]                  // 000000005690: D3B14014 1802495C
	v_pk_mul_f32 v[22:23], v[92:93], v[38:39]                  // 000000005698: D3B14016 18024D5C
	v_pk_mul_f32 v[24:25], v[92:93], v[40:41]                  // 0000000056A0: D3B14018 1802515C
	v_pk_mul_f32 v[26:27], v[92:93], v[42:43]                  // 0000000056A8: D3B1401A 1802555C
	v_pk_mul_f32 v[28:29], v[92:93], v[44:45]                  // 0000000056B0: D3B1401C 1802595C
	v_pk_mul_f32 v[30:31], v[92:93], v[46:47]                  // 0000000056B8: D3B1401E 18025D5C
	v_cvt_pk_fp8_f32 v16, v16, v17                             // 0000000056C0: D2A20010 00022310
	v_cvt_pk_fp8_f32 v16, v18, v19 op_sel:[0,0,1]              // 0000000056C8: D2A24010 00022712
	v_cvt_pk_fp8_f32 v17, v20, v21                             // 0000000056D0: D2A20011 00022B14
	v_cvt_pk_fp8_f32 v17, v22, v23 op_sel:[0,0,1]              // 0000000056D8: D2A24011 00022F16
	v_cvt_pk_fp8_f32 v18, v24, v25                             // 0000000056E0: D2A20012 00023318
	v_cvt_pk_fp8_f32 v18, v26, v27 op_sel:[0,0,1]              // 0000000056E8: D2A24012 0002371A
	v_cvt_pk_fp8_f32 v19, v28, v29                             // 0000000056F0: D2A20013 00023B1C
	v_cvt_pk_fp8_f32 v19, v30, v31 op_sel:[0,0,1]              // 0000000056F8: D2A24013 00023F1E
	ds_write_b32 v126, v16 offset:2560                         // 000000005700: D81A0A00 0000107E
	ds_write_b32 v126, v17 offset:3584                         // 000000005708: D81A0E00 0000117E
	ds_write_b32 v126, v18 offset:4608                         // 000000005710: D81A1200 0000127E
	ds_write_b32 v126, v19 offset:5632                         // 000000005718: D81A1600 0000137E
	v_rcp_f32_e32 v70, v92                                     // 000000005720: 7E8C455C
	s_nop 0                                                    // 000000005724: BF800000
	v_mov_b32_e32 v71, v70                                     // 000000005728: 7E8E0346
	buffer_load_dwordx4 a[104:107], v112, s[16:19], 0 offen    // 00000000572C: E05C1000 80846870
	v_pk_add_f32 v[56:57], v[56:57], v[48:49]                  // 000000005734: D3B24038 18026138
	v_pk_add_f32 v[58:59], v[58:59], v[50:51]                  // 00000000573C: D3B2403A 1802653A
	v_pk_add_f32 v[60:61], v[60:61], v[52:53]                  // 000000005744: D3B2403C 1802693C
	v_pk_add_f32 v[62:63], v[62:63], v[54:55]                  // 00000000574C: D3B2403E 18026D3E
	s_waitcnt lgkmcnt(0)                                       // 000000005754: BF8CC07F
	s_barrier                                                  // 000000005758: BF8A0000
	ds_read_b128 v[16:19], v127 offset:2560                    // 00000000575C: D9FE0A00 1000007F
	ds_read_b128 v[20:23], v127 offset:3584                    // 000000005764: D9FE0E00 1400007F
	ds_read_b128 v[24:27], v127 offset:4608                    // 00000000576C: D9FE1200 1800007F
	ds_read_b128 v[28:31], v127 offset:5632                    // 000000005774: D9FE1600 1C00007F
	buffer_load_dwordx4 a[108:111], v113, s[16:19], 0 offen    // 00000000577C: E05C1000 80846C71
	s_waitcnt vmcnt(14)                                        // 000000005784: BF8C0F7E
	s_waitcnt lgkmcnt(3)                                       // 000000005788: BF8CC37F
	v_mfma_f32_16x16x32_fp8_fp8 v[48:51], a[64:65], v[16:17], 0// 00000000578C: D3F30030 0A022140
	s_addk_i32 s67, 0x1                                        // 000000005794: B7430001
	v_mfma_f32_16x16x32_fp8_fp8 v[52:55], a[80:81], v[16:17], 0// 000000005798: D3F30034 0A022150
	s_cmp_lt_u32 s67, s97                                      // 0000000057A0: BF0A6143
	s_cselect_b32 s68, 4, 0                                    // 0000000057A4: 85448084
	v_mfma_f32_16x16x32_fp8_fp8 v[48:51], a[66:67], v[18:19], v[48:51]// 0000000057A8: D3F30030 0CC22542
	s_add_u32 s20, s20, s68                                    // 0000000057B0: 80144414
	s_addc_u32 s21, s21, 0                                     // 0000000057B4: 82158015
	v_mfma_f32_16x16x32_fp8_fp8 v[52:55], a[82:83], v[18:19], v[52:55]// 0000000057B8: D3F30034 0CD22552
	buffer_load_dwordx4 a[112:115], v110, s[16:19], 0 offen offset:1024// 0000000057C0: E05C1400 8084706E
	s_waitcnt lgkmcnt(2)                                       // 0000000057C8: BF8CC27F
	v_mfma_f32_16x16x32_fp8_fp8 v[48:51], a[68:69], v[20:21], v[48:51]// 0000000057CC: D3F30030 0CC22944
	v_mfma_f32_16x16x32_fp8_fp8 v[52:55], a[84:85], v[20:21], v[52:55]// 0000000057D4: D3F30034 0CD22954
	v_mfma_f32_16x16x32_fp8_fp8 v[48:51], a[70:71], v[22:23], v[48:51]// 0000000057DC: D3F30030 0CC22D46
	v_mfma_f32_16x16x32_fp8_fp8 v[52:55], a[86:87], v[22:23], v[52:55]// 0000000057E4: D3F30034 0CD22D56
	buffer_load_dwordx4 a[116:119], v111, s[16:19], 0 offen offset:1024// 0000000057EC: E05C1400 8084746F
	s_waitcnt lgkmcnt(1)                                       // 0000000057F4: BF8CC17F
	v_mfma_f32_16x16x32_fp8_fp8 v[48:51], a[72:73], v[24:25], v[48:51]// 0000000057F8: D3F30030 0CC23148
	v_mfma_f32_16x16x32_fp8_fp8 v[52:55], a[88:89], v[24:25], v[52:55]// 000000005800: D3F30034 0CD23158
	v_mfma_f32_16x16x32_fp8_fp8 v[48:51], a[74:75], v[26:27], v[48:51]// 000000005808: D3F30030 0CC2354A
	v_mfma_f32_16x16x32_fp8_fp8 v[52:55], a[90:91], v[26:27], v[52:55]// 000000005810: D3F30034 0CD2355A
	buffer_load_dwordx4 a[120:123], v112, s[16:19], 0 offen offset:1024// 000000005818: E05C1400 80847870
	s_waitcnt lgkmcnt(0)                                       // 000000005820: BF8CC07F
	v_mfma_f32_16x16x32_fp8_fp8 v[48:51], a[76:77], v[28:29], v[48:51]// 000000005824: D3F30030 0CC2394C
	v_mfma_f32_16x16x32_fp8_fp8 v[52:55], a[92:93], v[28:29], v[52:55]// 00000000582C: D3F30034 0CD2395C
	v_mfma_f32_16x16x32_fp8_fp8 v[48:51], a[78:79], v[30:31], v[48:51]// 000000005834: D3F30030 0CC23D4E
	v_mfma_f32_16x16x32_fp8_fp8 v[52:55], a[94:95], v[30:31], v[52:55]// 00000000583C: D3F30034 0CD23D5E
	buffer_load_dwordx4 a[124:127], v113, s[16:19], 0 offen offset:1024// 000000005844: E05C1400 80847C71
	s_load_dword s66, s[20:21], 0x0                            // 00000000584C: C002108A 00000000
	s_addk_i32 s56, 0x100                                      // 000000005854: B7380100
	s_cmp_lt_i32 s56, s57                                      // 000000005858: BF043938
	s_cbranch_scc0 label_1474                                  // 00000000585C: BF84081C
	s_waitcnt vmcnt(10)                                        // 000000005860: BF8C0F7A
	v_mfma_f32_16x16x32_fp8_fp8 v[16:19], a[32:33], v[8:9], 0  // 000000005864: D3F30010 0A021120
	s_add_u32 s12, s78, s69                                    // 00000000586C: 800C454E
	s_addc_u32 s13, s79, 0                                     // 000000005870: 820D804F
	v_mfma_f32_16x16x32_fp8_fp8 v[16:19], a[34:35], v[10:11], v[16:19]// 000000005874: D3F30010 0C421522
	buffer_load_dwordx4 a[0:3], v108, s[12:15], 0 offen        // 00000000587C: E05C1000 8083006C
	v_mfma_f32_16x16x32_fp8_fp8 v[16:19], a[36:37], v[12:13], v[16:19]// 000000005884: D3F30010 0C421924
	s_add_u32 s16, s80, s70                                    // 00000000588C: 80104650
	s_addc_u32 s17, s81, 0                                     // 000000005890: 82118051
	v_mfma_f32_16x16x32_fp8_fp8 v[16:19], a[38:39], v[14:15], v[16:19]// 000000005894: D3F30010 0C421D26
	s_add_u32 s24, s82, s71                                    // 00000000589C: 80184752
	s_addc_u32 s25, s83, 0                                     // 0000000058A0: 82198053
	v_mfma_f32_16x16x32_fp8_fp8 v[20:23], a[40:41], v[8:9], 0  // 0000000058A4: D3F30014 0A021128
	s_add_u32 s28, s84, s71                                    // 0000000058AC: 801C4754
	s_addc_u32 s29, s85, 0                                     // 0000000058B0: 821D8055
	v_mfma_f32_16x16x32_fp8_fp8 v[20:23], a[42:43], v[10:11], v[20:23]// 0000000058B4: D3F30014 0C52152A
	buffer_load_dwordx4 a[4:7], v109, s[12:15], 0 offen        // 0000000058BC: E05C1000 8083046D
	v_mfma_f32_16x16x32_fp8_fp8 v[20:23], a[44:45], v[12:13], v[20:23]// 0000000058C4: D3F30014 0C52192C
	s_add_u32 s69, s69, 0x1000                                 // 0000000058CC: 8045FF45 00001000
	s_add_u32 s70, s70, 0x8000                                 // 0000000058D4: 8046FF46 00008000
	v_mfma_f32_16x16x32_fp8_fp8 v[20:23], a[46:47], v[14:15], v[20:23]// 0000000058DC: D3F30014 0C521D2E
	s_add_u32 s71, s71, 0x400                                  // 0000000058E4: 8047FF47 00000400
	v_mfma_f32_16x16x32_fp8_fp8 v[24:27], a[48:49], v[8:9], 0  // 0000000058EC: D3F30018 0A021130
	v_mfma_f32_16x16x32_fp8_fp8 v[24:27], a[50:51], v[10:11], v[24:27]// 0000000058F4: D3F30018 0C621532
	buffer_load_dwordx4 a[8:11], v108, s[12:15], 0 offen offset:1024// 0000000058FC: E05C1400 8083086C
	v_mfma_f32_16x16x32_fp8_fp8 v[24:27], a[52:53], v[12:13], v[24:27]// 000000005904: D3F30018 0C621934
	v_mfma_f32_16x16x32_fp8_fp8 v[24:27], a[54:55], v[14:15], v[24:27]// 00000000590C: D3F30018 0C621D36
	v_mfma_f32_16x16x32_fp8_fp8 v[28:31], a[56:57], v[8:9], 0  // 000000005914: D3F3001C 0A021138
	v_mfma_f32_16x16x32_fp8_fp8 v[28:31], a[58:59], v[10:11], v[28:31]// 00000000591C: D3F3001C 0C72153A
	buffer_load_dwordx4 a[12:15], v109, s[12:15], 0 offen offset:1024// 000000005924: E05C1400 80830C6D
	v_mfma_f32_16x16x32_fp8_fp8 v[28:31], a[60:61], v[12:13], v[28:31]// 00000000592C: D3F3001C 0C72193C
	v_mfma_f32_16x16x32_fp8_fp8 v[28:31], a[62:63], v[14:15], v[28:31]// 000000005934: D3F3001C 0C721D3E
	s_waitcnt vmcnt(12)                                        // 00000000593C: BF8C0F7C
	v_pk_mul_f32 v[16:17], v[64:65], v[16:17]                  // 000000005940: D3B14010 18022140
	v_pk_mul_f32 v[18:19], v[64:65], v[18:19]                  // 000000005948: D3B14012 18022540
	v_mul_f32_dpp v16, v67, v16 row_newbcast:0 row_mask:0xf bank_mask:0xf// 000000005950: 0A2020FA FF015043
	v_mul_f32_dpp v17, v67, v17 row_newbcast:1 row_mask:0xf bank_mask:0xf// 000000005958: 0A2222FA FF015143
	v_mul_f32_dpp v18, v67, v18 row_newbcast:2 row_mask:0xf bank_mask:0xf// 000000005960: 0A2424FA FF015243
	v_mul_f32_dpp v19, v67, v19 row_newbcast:3 row_mask:0xf bank_mask:0xf// 000000005968: 0A2626FA FF015343
	v_pk_mul_f32 v[20:21], v[64:65], v[20:21]                  // 000000005970: D3B14014 18022940
	v_pk_mul_f32 v[22:23], v[64:65], v[22:23]                  // 000000005978: D3B14016 18022D40
	v_mul_f32_dpp v20, v67, v20 row_newbcast:4 row_mask:0xf bank_mask:0xf// 000000005980: 0A2828FA FF015443
	v_mul_f32_dpp v21, v67, v21 row_newbcast:5 row_mask:0xf bank_mask:0xf// 000000005988: 0A2A2AFA FF015543
	v_mul_f32_dpp v22, v67, v22 row_newbcast:6 row_mask:0xf bank_mask:0xf// 000000005990: 0A2C2CFA FF015643
	v_mul_f32_dpp v23, v67, v23 row_newbcast:7 row_mask:0xf bank_mask:0xf// 000000005998: 0A2E2EFA FF015743
	v_pk_mul_f32 v[24:25], v[64:65], v[24:25]                  // 0000000059A0: D3B14018 18023140
	v_pk_mul_f32 v[26:27], v[64:65], v[26:27]                  // 0000000059A8: D3B1401A 18023540
	v_mul_f32_dpp v24, v67, v24 row_newbcast:8 row_mask:0xf bank_mask:0xf// 0000000059B0: 0A3030FA FF015843
	v_mul_f32_dpp v25, v67, v25 row_newbcast:9 row_mask:0xf bank_mask:0xf// 0000000059B8: 0A3232FA FF015943
	v_mul_f32_dpp v26, v67, v26 row_newbcast:10 row_mask:0xf bank_mask:0xf// 0000000059C0: 0A3434FA FF015A43
	v_mul_f32_dpp v27, v67, v27 row_newbcast:11 row_mask:0xf bank_mask:0xf// 0000000059C8: 0A3636FA FF015B43
	v_pk_mul_f32 v[28:29], v[64:65], v[28:29]                  // 0000000059D0: D3B1401C 18023940
	v_pk_mul_f32 v[30:31], v[64:65], v[30:31]                  // 0000000059D8: D3B1401E 18023D40
	v_mul_f32_dpp v28, v67, v28 row_newbcast:12 row_mask:0xf bank_mask:0xf// 0000000059E0: 0A3838FA FF015C43
	v_mul_f32_dpp v29, v67, v29 row_newbcast:13 row_mask:0xf bank_mask:0xf// 0000000059E8: 0A3A3AFA FF015D43
	v_mul_f32_dpp v30, v67, v30 row_newbcast:14 row_mask:0xf bank_mask:0xf// 0000000059F0: 0A3C3CFA FF015E43
	v_mul_f32_dpp v31, v67, v31 row_newbcast:15 row_mask:0xf bank_mask:0xf// 0000000059F8: 0A3E3EFA FF015F43
	buffer_load_dwordx4 a[16:19], v108, s[12:15], 0 offen offset:2048// 000000005A00: E05C1800 8083106C
	v_mov_b32_e32 v92, v16                                     // 000000005A08: 7EB80310
	v_max3_f32 v92, v16, v17, v92                              // 000000005A0C: D1D3005C 05722310
	v_max3_f32 v92, v18, v19, v92                              // 000000005A14: D1D3005C 05722712
	v_max3_f32 v92, v20, v21, v92                              // 000000005A1C: D1D3005C 05722B14
	v_max3_f32 v92, v22, v23, v92                              // 000000005A24: D1D3005C 05722F16
	v_max3_f32 v92, v24, v25, v92                              // 000000005A2C: D1D3005C 05723318
	v_max3_f32 v92, v26, v27, v92                              // 000000005A34: D1D3005C 0572371A
	v_max3_f32 v92, v28, v29, v92                              // 000000005A3C: D1D3005C 05723B1C
	v_max3_f32 v92, v30, v31, v92                              // 000000005A44: D1D3005C 05723F1E
	ds_write_b32 v124, v92                                     // 000000005A4C: D81A0000 00005C7C
	v_pk_mul_f32 v[56:57], v[94:95], v[56:57]                  // 000000005A54: D3B14038 1802715E
	v_pk_mul_f32 v[58:59], v[94:95], v[58:59]                  // 000000005A5C: D3B1403A 1802755E
	v_pk_mul_f32 v[60:61], v[94:95], v[60:61]                  // 000000005A64: D3B1403C 1802795E
	v_pk_mul_f32 v[62:63], v[94:95], v[62:63]                  // 000000005A6C: D3B1403E 18027D5E
	buffer_load_dwordx4 a[20:23], v109, s[12:15], 0 offen offset:2048// 000000005A74: E05C1800 8083146D
	s_waitcnt lgkmcnt(0)                                       // 000000005A7C: BF8CC07F
	s_barrier                                                  // 000000005A80: BF8A0000
	v_pk_mul_f32 v[48:49], v[70:71], v[48:49]                  // 000000005A84: D3B14030 18026146
	v_pk_mul_f32 v[50:51], v[70:71], v[50:51]                  // 000000005A8C: D3B14032 18026546
	v_pk_mul_f32 v[52:53], v[70:71], v[52:53]                  // 000000005A94: D3B14034 18026946
	v_pk_mul_f32 v[54:55], v[70:71], v[54:55]                  // 000000005A9C: D3B14036 18026D46
	buffer_load_dwordx4 a[24:27], v108, s[12:15], 0 offen offset:3072// 000000005AA4: E05C1C00 8083186C
	ds_read_b32 v76, v125                                      // 000000005AAC: D86C0000 4C00007D
	ds_read_b32 v77, v125 offset:64                            // 000000005AB4: D86C0040 4D00007D
	ds_read_b32 v78, v125 offset:128                           // 000000005ABC: D86C0080 4E00007D
	ds_read_b32 v79, v125 offset:192                           // 000000005AC4: D86C00C0 4F00007D
	ds_read_b32 v80, v125 offset:256                           // 000000005ACC: D86C0100 5000007D
	ds_read_b32 v81, v125 offset:320                           // 000000005AD4: D86C0140 5100007D
	ds_read_b32 v82, v125 offset:384                           // 000000005ADC: D86C0180 5200007D
	ds_read_b32 v83, v125 offset:448                           // 000000005AE4: D86C01C0 5300007D
	ds_read_b32 v84, v125 offset:512                           // 000000005AEC: D86C0200 5400007D
	ds_read_b32 v85, v125 offset:576                           // 000000005AF4: D86C0240 5500007D
	ds_read_b32 v86, v125 offset:640                           // 000000005AFC: D86C0280 5600007D
	ds_read_b32 v87, v125 offset:704                           // 000000005B04: D86C02C0 5700007D
	ds_read_b32 v88, v125 offset:768                           // 000000005B0C: D86C0300 5800007D
	ds_read_b32 v89, v125 offset:832                           // 000000005B14: D86C0340 5900007D
	ds_read_b32 v90, v125 offset:896                           // 000000005B1C: D86C0380 5A00007D
	ds_read_b32 v91, v125 offset:960                           // 000000005B24: D86C03C0 5B00007D
	buffer_load_dwordx4 a[28:31], v109, s[12:15], 0 offen offset:3072// 000000005B2C: E05C1C00 80831C6D
	s_waitcnt lgkmcnt(0)                                       // 000000005B34: BF8CC07F
	v_max3_f32 v92, v76, v77, v92                              // 000000005B38: D1D3005C 05729B4C
	v_max3_f32 v92, v78, v79, v92                              // 000000005B40: D1D3005C 05729F4E
	v_max3_f32 v92, v80, v81, v92                              // 000000005B48: D1D3005C 0572A350
	v_max3_f32 v92, v82, v83, v92                              // 000000005B50: D1D3005C 0572A752
	v_max3_f32 v92, v84, v85, v92                              // 000000005B58: D1D3005C 0572AB54
	v_max3_f32 v92, v86, v87, v92                              // 000000005B60: D1D3005C 0572AF56
	v_max3_f32 v92, v88, v89, v92                              // 000000005B68: D1D3005C 0572B358
	v_max3_f32 v92, v90, v91, v92                              // 000000005B70: D1D3005C 0572B75A
	v_max_f32_e32 v97, v92, v96                                // 000000005B78: 16C2C15C
	v_mul_f32_e64 v72, -s58, v97                               // 000000005B7C: D1050048 2002C23A
	v_mov_b32_e32 v73, v72                                     // 000000005B84: 7E920348
	v_pk_fma_f32 v[16:17], v[16:17], s[88:89], v[72:73]        // 000000005B88: D3B04010 1D20B110
	v_pk_fma_f32 v[18:19], v[18:19], s[88:89], v[72:73]        // 000000005B90: D3B04012 1D20B112
	v_exp_f32_e32 v16, v16                                     // 000000005B98: 7E204110
	v_exp_f32_e32 v17, v17                                     // 000000005B9C: 7E224111
	v_exp_f32_e32 v18, v18                                     // 000000005BA0: 7E244112
	v_exp_f32_e32 v19, v19                                     // 000000005BA4: 7E264113
	v_pk_fma_f32 v[20:21], v[20:21], s[88:89], v[72:73]        // 000000005BA8: D3B04014 1D20B114
	v_pk_fma_f32 v[22:23], v[22:23], s[88:89], v[72:73]        // 000000005BB0: D3B04016 1D20B116
	v_exp_f32_e32 v20, v20                                     // 000000005BB8: 7E284114
	v_exp_f32_e32 v21, v21                                     // 000000005BBC: 7E2A4115
	v_exp_f32_e32 v22, v22                                     // 000000005BC0: 7E2C4116
	v_exp_f32_e32 v23, v23                                     // 000000005BC4: 7E2E4117
	v_pk_fma_f32 v[24:25], v[24:25], s[88:89], v[72:73]        // 000000005BC8: D3B04018 1D20B118
	v_pk_fma_f32 v[26:27], v[26:27], s[88:89], v[72:73]        // 000000005BD0: D3B0401A 1D20B11A
	v_exp_f32_e32 v24, v24                                     // 000000005BD8: 7E304118
	v_exp_f32_e32 v25, v25                                     // 000000005BDC: 7E324119
	v_exp_f32_e32 v26, v26                                     // 000000005BE0: 7E34411A
	v_exp_f32_e32 v27, v27                                     // 000000005BE4: 7E36411B
	v_pk_fma_f32 v[28:29], v[28:29], s[88:89], v[72:73]        // 000000005BE8: D3B0401C 1D20B11C
	v_pk_fma_f32 v[30:31], v[30:31], s[88:89], v[72:73]        // 000000005BF0: D3B0401E 1D20B11E
	v_exp_f32_e32 v28, v28                                     // 000000005BF8: 7E38411C
	v_exp_f32_e32 v29, v29                                     // 000000005BFC: 7E3A411D
	v_exp_f32_e32 v30, v30                                     // 000000005C00: 7E3C411E
	v_exp_f32_e32 v31, v31                                     // 000000005C04: 7E3E411F
	v_mul_f32_dpp v32, v69, v16 row_newbcast:0 row_mask:0xf bank_mask:0xf// 000000005C08: 0A4020FA FF015045
	v_mul_f32_dpp v33, v69, v17 row_newbcast:1 row_mask:0xf bank_mask:0xf// 000000005C10: 0A4222FA FF015145
	v_mul_f32_dpp v34, v69, v18 row_newbcast:2 row_mask:0xf bank_mask:0xf// 000000005C18: 0A4424FA FF015245
	v_mul_f32_dpp v35, v69, v19 row_newbcast:3 row_mask:0xf bank_mask:0xf// 000000005C20: 0A4626FA FF015345
	v_mul_f32_dpp v36, v69, v20 row_newbcast:4 row_mask:0xf bank_mask:0xf// 000000005C28: 0A4828FA FF015445
	v_mul_f32_dpp v37, v69, v21 row_newbcast:5 row_mask:0xf bank_mask:0xf// 000000005C30: 0A4A2AFA FF015545
	v_mul_f32_dpp v38, v69, v22 row_newbcast:6 row_mask:0xf bank_mask:0xf// 000000005C38: 0A4C2CFA FF015645
	v_mul_f32_dpp v39, v69, v23 row_newbcast:7 row_mask:0xf bank_mask:0xf// 000000005C40: 0A4E2EFA FF015745
	v_mul_f32_dpp v40, v69, v24 row_newbcast:8 row_mask:0xf bank_mask:0xf// 000000005C48: 0A5030FA FF015845
	v_mul_f32_dpp v41, v69, v25 row_newbcast:9 row_mask:0xf bank_mask:0xf// 000000005C50: 0A5232FA FF015945
	v_mul_f32_dpp v42, v69, v26 row_newbcast:10 row_mask:0xf bank_mask:0xf// 000000005C58: 0A5434FA FF015A45
	v_mul_f32_dpp v43, v69, v27 row_newbcast:11 row_mask:0xf bank_mask:0xf// 000000005C60: 0A5636FA FF015B45
	v_mul_f32_dpp v44, v69, v28 row_newbcast:12 row_mask:0xf bank_mask:0xf// 000000005C68: 0A5838FA FF015C45
	v_mul_f32_dpp v45, v69, v29 row_newbcast:13 row_mask:0xf bank_mask:0xf// 000000005C70: 0A5A3AFA FF015D45
	v_mul_f32_dpp v46, v69, v30 row_newbcast:14 row_mask:0xf bank_mask:0xf// 000000005C78: 0A5C3CFA FF015E45
	v_mul_f32_dpp v47, v69, v31 row_newbcast:15 row_mask:0xf bank_mask:0xf// 000000005C80: 0A5E3EFA FF015F45
	v_mov_b32_e32 v92, 0x358637bd                              // 000000005C88: 7EB802FF 358637BD
	v_max3_f32 v92, |v32|, |v33|, v92                          // 000000005C90: D1D3035C 05724320
	v_max3_f32 v92, |v34|, |v35|, v92                          // 000000005C98: D1D3035C 05724722
	v_max3_f32 v92, |v36|, |v37|, v92                          // 000000005CA0: D1D3035C 05724B24
	v_max3_f32 v92, |v38|, |v39|, v92                          // 000000005CA8: D1D3035C 05724F26
	v_max3_f32 v92, |v40|, |v41|, v92                          // 000000005CB0: D1D3035C 05725328
	v_max3_f32 v92, |v42|, |v43|, v92                          // 000000005CB8: D1D3035C 0572572A
	v_max3_f32 v92, |v44|, |v45|, v92                          // 000000005CC0: D1D3035C 05725B2C
	v_max3_f32 v92, |v46|, |v47|, v92                          // 000000005CC8: D1D3035C 05725F2E
	ds_write_b32 v124, v92 offset:1280                         // 000000005CD0: D81A0500 00005C7C
	buffer_load_dword v66, v114, s[24:27], 0 offen             // 000000005CD8: E0501000 80064272
	v_sub_f32_e32 v94, v96, v97                                // 000000005CE0: 04BCC360
	v_cmp_eq_u32_e64 s[86:87], v105, v96                       // 000000005CE4: D0CA0056 0002C169
	s_nop 0                                                    // 000000005CEC: BF800000
	v_cndmask_b32_e64 v94, v94, 0, s[86:87]                    // 000000005CF0: D100005E 0159015E
	v_mov_b32_e32 v96, v97                                     // 000000005CF8: 7EC00361
	v_mul_f32_e32 v94, s58, v94                                // 000000005CFC: 0ABCBC3A
	v_exp_f32_e32 v94, v94                                     // 000000005D00: 7EBC415E
	s_nop 0                                                    // 000000005D04: BF800000
	v_mov_b32_e32 v95, v94                                     // 000000005D08: 7EBE035E
	buffer_load_dword v68, v115, s[28:31], 0 offen             // 000000005D0C: E0501000 80074473
	s_waitcnt lgkmcnt(0)                                       // 000000005D14: BF8CC07F
	s_barrier                                                  // 000000005D18: BF8A0000
	v_mul_f32_e32 v98, v94, v98                                // 000000005D1C: 0AC4C55E
	v_add_f32_e32 v98, v16, v98                                // 000000005D20: 02C4C510
	v_add_f32_e32 v98, v17, v98                                // 000000005D24: 02C4C511
	v_add_f32_e32 v98, v18, v98                                // 000000005D28: 02C4C512
	v_add_f32_e32 v98, v19, v98                                // 000000005D2C: 02C4C513
	v_add_f32_e32 v98, v20, v98                                // 000000005D30: 02C4C514
	v_add_f32_e32 v98, v21, v98                                // 000000005D34: 02C4C515
	v_add_f32_e32 v98, v22, v98                                // 000000005D38: 02C4C516
	v_add_f32_e32 v98, v23, v98                                // 000000005D3C: 02C4C517
	v_add_f32_e32 v98, v24, v98                                // 000000005D40: 02C4C518
	v_add_f32_e32 v98, v25, v98                                // 000000005D44: 02C4C519
	v_add_f32_e32 v98, v26, v98                                // 000000005D48: 02C4C51A
	v_add_f32_e32 v98, v27, v98                                // 000000005D4C: 02C4C51B
	v_add_f32_e32 v98, v28, v98                                // 000000005D50: 02C4C51C
	v_add_f32_e32 v98, v29, v98                                // 000000005D54: 02C4C51D
	v_add_f32_e32 v98, v30, v98                                // 000000005D58: 02C4C51E
	v_add_f32_e32 v98, v31, v98                                // 000000005D5C: 02C4C51F
	buffer_load_dwordx4 a[68:71], v111, s[16:19], 0 offen      // 000000005D60: E05C1000 8084446F
	ds_read_b32 v76, v125 offset:1280                          // 000000005D68: D86C0500 4C00007D
	ds_read_b32 v77, v125 offset:1344                          // 000000005D70: D86C0540 4D00007D
	ds_read_b32 v78, v125 offset:1408                          // 000000005D78: D86C0580 4E00007D
	ds_read_b32 v79, v125 offset:1472                          // 000000005D80: D86C05C0 4F00007D
	ds_read_b32 v80, v125 offset:1536                          // 000000005D88: D86C0600 5000007D
	ds_read_b32 v81, v125 offset:1600                          // 000000005D90: D86C0640 5100007D
	ds_read_b32 v82, v125 offset:1664                          // 000000005D98: D86C0680 5200007D
	ds_read_b32 v83, v125 offset:1728                          // 000000005DA0: D86C06C0 5300007D
	ds_read_b32 v84, v125 offset:1792                          // 000000005DA8: D86C0700 5400007D
	ds_read_b32 v85, v125 offset:1856                          // 000000005DB0: D86C0740 5500007D
	ds_read_b32 v86, v125 offset:1920                          // 000000005DB8: D86C0780 5600007D
	ds_read_b32 v87, v125 offset:1984                          // 000000005DC0: D86C07C0 5700007D
	ds_read_b32 v88, v125 offset:2048                          // 000000005DC8: D86C0800 5800007D
	ds_read_b32 v89, v125 offset:2112                          // 000000005DD0: D86C0840 5900007D
	ds_read_b32 v90, v125 offset:2176                          // 000000005DD8: D86C0880 5A00007D
	ds_read_b32 v91, v125 offset:2240                          // 000000005DE0: D86C08C0 5B00007D
	buffer_load_dwordx4 a[64:67], v110, s[16:19], 0 offen      // 000000005DE8: E05C1000 8084406E
	s_waitcnt lgkmcnt(0)                                       // 000000005DF0: BF8CC07F
	v_max3_f32 v92, v76, v77, v92                              // 000000005DF4: D1D3005C 05729B4C
	v_max3_f32 v92, v78, v79, v92                              // 000000005DFC: D1D3005C 05729F4E
	v_max3_f32 v92, v80, v81, v92                              // 000000005E04: D1D3005C 0572A350
	v_max3_f32 v92, v82, v83, v92                              // 000000005E0C: D1D3005C 0572A752
	v_max3_f32 v92, v84, v85, v92                              // 000000005E14: D1D3005C 0572AB54
	v_max3_f32 v92, v86, v87, v92                              // 000000005E1C: D1D3005C 0572AF56
	v_max3_f32 v92, v88, v89, v92                              // 000000005E24: D1D3005C 0572B358
	v_max3_f32 v92, v90, v91, v92                              // 000000005E2C: D1D3005C 0572B75A
	v_rcp_f32_e32 v92, v92                                     // 000000005E34: 7EB8455C
	s_nop 0                                                    // 000000005E38: BF800000
	v_mul_f32_e32 v92, 0x43700000, v92                         // 000000005E3C: 0AB8B8FF 43700000
	v_mov_b32_e32 v93, v92                                     // 000000005E44: 7EBA035C
	v_pk_mul_f32 v[16:17], v[92:93], v[32:33]                  // 000000005E48: D3B14010 1802415C
	v_pk_mul_f32 v[18:19], v[92:93], v[34:35]                  // 000000005E50: D3B14012 1802455C
	v_pk_mul_f32 v[20:21], v[92:93], v[36:37]                  // 000000005E58: D3B14014 1802495C
	v_pk_mul_f32 v[22:23], v[92:93], v[38:39]                  // 000000005E60: D3B14016 18024D5C
	v_pk_mul_f32 v[24:25], v[92:93], v[40:41]                  // 000000005E68: D3B14018 1802515C
	v_pk_mul_f32 v[26:27], v[92:93], v[42:43]                  // 000000005E70: D3B1401A 1802555C
	v_pk_mul_f32 v[28:29], v[92:93], v[44:45]                  // 000000005E78: D3B1401C 1802595C
	v_pk_mul_f32 v[30:31], v[92:93], v[46:47]                  // 000000005E80: D3B1401E 18025D5C
	v_cvt_pk_fp8_f32 v16, v16, v17                             // 000000005E88: D2A20010 00022310
	v_cvt_pk_fp8_f32 v16, v18, v19 op_sel:[0,0,1]              // 000000005E90: D2A24010 00022712
	v_cvt_pk_fp8_f32 v17, v20, v21                             // 000000005E98: D2A20011 00022B14
	v_cvt_pk_fp8_f32 v17, v22, v23 op_sel:[0,0,1]              // 000000005EA0: D2A24011 00022F16
	v_cvt_pk_fp8_f32 v18, v24, v25                             // 000000005EA8: D2A20012 00023318
	v_cvt_pk_fp8_f32 v18, v26, v27 op_sel:[0,0,1]              // 000000005EB0: D2A24012 0002371A
	v_cvt_pk_fp8_f32 v19, v28, v29                             // 000000005EB8: D2A20013 00023B1C
	v_cvt_pk_fp8_f32 v19, v30, v31 op_sel:[0,0,1]              // 000000005EC0: D2A24013 00023F1E
	ds_write_b32 v126, v16 offset:2560                         // 000000005EC8: D81A0A00 0000107E
	ds_write_b32 v126, v17 offset:3584                         // 000000005ED0: D81A0E00 0000117E
	ds_write_b32 v126, v18 offset:4608                         // 000000005ED8: D81A1200 0000127E
	ds_write_b32 v126, v19 offset:5632                         // 000000005EE0: D81A1600 0000137E
	v_rcp_f32_e32 v70, v92                                     // 000000005EE8: 7E8C455C
	s_nop 0                                                    // 000000005EEC: BF800000
	v_mov_b32_e32 v71, v70                                     // 000000005EF0: 7E8E0346
	buffer_load_dwordx4 a[72:75], v112, s[16:19], 0 offen      // 000000005EF4: E05C1000 80844870
	v_pk_add_f32 v[56:57], v[56:57], v[48:49]                  // 000000005EFC: D3B24038 18026138
	v_pk_add_f32 v[58:59], v[58:59], v[50:51]                  // 000000005F04: D3B2403A 1802653A
	v_pk_add_f32 v[60:61], v[60:61], v[52:53]                  // 000000005F0C: D3B2403C 1802693C
	v_pk_add_f32 v[62:63], v[62:63], v[54:55]                  // 000000005F14: D3B2403E 18026D3E
	s_waitcnt lgkmcnt(0)                                       // 000000005F1C: BF8CC07F
	s_barrier                                                  // 000000005F20: BF8A0000
	ds_read_b128 v[16:19], v127 offset:2560                    // 000000005F24: D9FE0A00 1000007F
	ds_read_b128 v[20:23], v127 offset:3584                    // 000000005F2C: D9FE0E00 1400007F
	ds_read_b128 v[24:27], v127 offset:4608                    // 000000005F34: D9FE1200 1800007F
	ds_read_b128 v[28:31], v127 offset:5632                    // 000000005F3C: D9FE1600 1C00007F
	buffer_load_dwordx4 a[76:79], v113, s[16:19], 0 offen      // 000000005F44: E05C1000 80844C71
	s_waitcnt vmcnt(14)                                        // 000000005F4C: BF8C0F7E
	s_waitcnt lgkmcnt(3)                                       // 000000005F50: BF8CC37F
	v_mfma_f32_16x16x32_fp8_fp8 v[48:51], a[96:97], v[16:17], 0// 000000005F54: D3F30030 0A022160
	v_mfma_f32_16x16x32_fp8_fp8 v[52:55], a[112:113], v[16:17], 0// 000000005F5C: D3F30034 0A022170
	v_mfma_f32_16x16x32_fp8_fp8 v[48:51], a[98:99], v[18:19], v[48:51]// 000000005F64: D3F30030 0CC22562
	v_mfma_f32_16x16x32_fp8_fp8 v[52:55], a[114:115], v[18:19], v[52:55]// 000000005F6C: D3F30034 0CD22572
	buffer_load_dwordx4 a[80:83], v110, s[16:19], 0 offen offset:1024// 000000005F74: E05C1400 8084506E
	s_waitcnt lgkmcnt(2)                                       // 000000005F7C: BF8CC27F
	v_mfma_f32_16x16x32_fp8_fp8 v[48:51], a[100:101], v[20:21], v[48:51]// 000000005F80: D3F30030 0CC22964
	v_mfma_f32_16x16x32_fp8_fp8 v[52:55], a[116:117], v[20:21], v[52:55]// 000000005F88: D3F30034 0CD22974
	v_mfma_f32_16x16x32_fp8_fp8 v[48:51], a[102:103], v[22:23], v[48:51]// 000000005F90: D3F30030 0CC22D66
	v_mfma_f32_16x16x32_fp8_fp8 v[52:55], a[118:119], v[22:23], v[52:55]// 000000005F98: D3F30034 0CD22D76
	buffer_load_dwordx4 a[84:87], v111, s[16:19], 0 offen offset:1024// 000000005FA0: E05C1400 8084546F
	s_waitcnt lgkmcnt(1)                                       // 000000005FA8: BF8CC17F
	v_mfma_f32_16x16x32_fp8_fp8 v[48:51], a[104:105], v[24:25], v[48:51]// 000000005FAC: D3F30030 0CC23168
	v_mfma_f32_16x16x32_fp8_fp8 v[52:55], a[120:121], v[24:25], v[52:55]// 000000005FB4: D3F30034 0CD23178
	v_mfma_f32_16x16x32_fp8_fp8 v[48:51], a[106:107], v[26:27], v[48:51]// 000000005FBC: D3F30030 0CC2356A
	v_mfma_f32_16x16x32_fp8_fp8 v[52:55], a[122:123], v[26:27], v[52:55]// 000000005FC4: D3F30034 0CD2357A
	buffer_load_dwordx4 a[88:91], v112, s[16:19], 0 offen offset:1024// 000000005FCC: E05C1400 80845870
	s_waitcnt lgkmcnt(0)                                       // 000000005FD4: BF8CC07F
	v_mfma_f32_16x16x32_fp8_fp8 v[48:51], a[108:109], v[28:29], v[48:51]// 000000005FD8: D3F30030 0CC2396C
	v_mfma_f32_16x16x32_fp8_fp8 v[52:55], a[124:125], v[28:29], v[52:55]// 000000005FE0: D3F30034 0CD2397C
	v_mfma_f32_16x16x32_fp8_fp8 v[48:51], a[110:111], v[30:31], v[48:51]// 000000005FE8: D3F30030 0CC23D6E
	v_mfma_f32_16x16x32_fp8_fp8 v[52:55], a[126:127], v[30:31], v[52:55]// 000000005FF0: D3F30034 0CD23D7E
	buffer_load_dwordx4 a[92:95], v113, s[16:19], 0 offen offset:1024// 000000005FF8: E05C1400 80845C71
	s_addk_i32 s56, 0x100                                      // 000000006000: B7380100
	s_cmp_lt_i32 s56, s57                                      // 000000006004: BF043938
	s_cbranch_scc0 label_16CC                                  // 000000006008: BF840889
	s_waitcnt vmcnt(10)                                        // 00000000600C: BF8C0F7A
	v_mfma_f32_16x16x32_fp8_fp8 v[16:19], a[0:1], v[8:9], 0    // 000000006010: D3F30010 0A021100
	s_add_u32 s12, s78, s69                                    // 000000006018: 800C454E
	s_addc_u32 s13, s79, 0                                     // 00000000601C: 820D804F
	v_mfma_f32_16x16x32_fp8_fp8 v[16:19], a[2:3], v[10:11], v[16:19]// 000000006020: D3F30010 0C421502
	buffer_load_dwordx4 a[32:35], v108, s[12:15], 0 offen      // 000000006028: E05C1000 8083206C
	v_mfma_f32_16x16x32_fp8_fp8 v[16:19], a[4:5], v[12:13], v[16:19]// 000000006030: D3F30010 0C421904
	s_add_u32 s16, s80, s70                                    // 000000006038: 80104650
	s_addc_u32 s17, s81, 0                                     // 00000000603C: 82118051
	v_mfma_f32_16x16x32_fp8_fp8 v[16:19], a[6:7], v[14:15], v[16:19]// 000000006040: D3F30010 0C421D06
	s_add_u32 s24, s82, s71                                    // 000000006048: 80184752
	s_addc_u32 s25, s83, 0                                     // 00000000604C: 82198053
	v_mfma_f32_16x16x32_fp8_fp8 v[20:23], a[8:9], v[8:9], 0    // 000000006050: D3F30014 0A021108
	s_add_u32 s28, s84, s71                                    // 000000006058: 801C4754
	s_addc_u32 s29, s85, 0                                     // 00000000605C: 821D8055
	v_mfma_f32_16x16x32_fp8_fp8 v[20:23], a[10:11], v[10:11], v[20:23]// 000000006060: D3F30014 0C52150A
	buffer_load_dwordx4 a[36:39], v109, s[12:15], 0 offen      // 000000006068: E05C1000 8083246D
	v_mfma_f32_16x16x32_fp8_fp8 v[20:23], a[12:13], v[12:13], v[20:23]// 000000006070: D3F30014 0C52190C
	s_mul_i32 s69, s66, s62                                    // 000000006078: 92453E42
	s_mov_b32 s70, s69                                         // 00000000607C: BEC60045
	v_mfma_f32_16x16x32_fp8_fp8 v[20:23], a[14:15], v[14:15], v[20:23]// 000000006080: D3F30014 0C521D0E
	s_mul_i32 s71, s66, s64                                    // 000000006088: 92474042
	v_mfma_f32_16x16x32_fp8_fp8 v[24:27], a[16:17], v[8:9], 0  // 00000000608C: D3F30018 0A021110
	v_mfma_f32_16x16x32_fp8_fp8 v[24:27], a[18:19], v[10:11], v[24:27]// 000000006094: D3F30018 0C621512
	buffer_load_dwordx4 a[40:43], v108, s[12:15], 0 offen offset:1024// 00000000609C: E05C1400 8083286C
	v_mfma_f32_16x16x32_fp8_fp8 v[24:27], a[20:21], v[12:13], v[24:27]// 0000000060A4: D3F30018 0C621914
	v_mfma_f32_16x16x32_fp8_fp8 v[24:27], a[22:23], v[14:15], v[24:27]// 0000000060AC: D3F30018 0C621D16
	v_mfma_f32_16x16x32_fp8_fp8 v[28:31], a[24:25], v[8:9], 0  // 0000000060B4: D3F3001C 0A021118
	v_mfma_f32_16x16x32_fp8_fp8 v[28:31], a[26:27], v[10:11], v[28:31]// 0000000060BC: D3F3001C 0C72151A
	buffer_load_dwordx4 a[44:47], v109, s[12:15], 0 offen offset:1024// 0000000060C4: E05C1400 80832C6D
	v_mfma_f32_16x16x32_fp8_fp8 v[28:31], a[28:29], v[12:13], v[28:31]// 0000000060CC: D3F3001C 0C72191C
	v_mfma_f32_16x16x32_fp8_fp8 v[28:31], a[30:31], v[14:15], v[28:31]// 0000000060D4: D3F3001C 0C721D1E
	s_waitcnt vmcnt(12)                                        // 0000000060DC: BF8C0F7C
	v_pk_mul_f32 v[16:17], v[64:65], v[16:17]                  // 0000000060E0: D3B14010 18022140
	v_pk_mul_f32 v[18:19], v[64:65], v[18:19]                  // 0000000060E8: D3B14012 18022540
	v_mul_f32_dpp v16, v66, v16 row_newbcast:0 row_mask:0xf bank_mask:0xf// 0000000060F0: 0A2020FA FF015042
	v_mul_f32_dpp v17, v66, v17 row_newbcast:1 row_mask:0xf bank_mask:0xf// 0000000060F8: 0A2222FA FF015142
	v_mul_f32_dpp v18, v66, v18 row_newbcast:2 row_mask:0xf bank_mask:0xf// 000000006100: 0A2424FA FF015242
	v_mul_f32_dpp v19, v66, v19 row_newbcast:3 row_mask:0xf bank_mask:0xf// 000000006108: 0A2626FA FF015342
	v_pk_mul_f32 v[20:21], v[64:65], v[20:21]                  // 000000006110: D3B14014 18022940
	v_pk_mul_f32 v[22:23], v[64:65], v[22:23]                  // 000000006118: D3B14016 18022D40
	v_mul_f32_dpp v20, v66, v20 row_newbcast:4 row_mask:0xf bank_mask:0xf// 000000006120: 0A2828FA FF015442
	v_mul_f32_dpp v21, v66, v21 row_newbcast:5 row_mask:0xf bank_mask:0xf// 000000006128: 0A2A2AFA FF015542
	v_mul_f32_dpp v22, v66, v22 row_newbcast:6 row_mask:0xf bank_mask:0xf// 000000006130: 0A2C2CFA FF015642
	v_mul_f32_dpp v23, v66, v23 row_newbcast:7 row_mask:0xf bank_mask:0xf// 000000006138: 0A2E2EFA FF015742
	v_pk_mul_f32 v[24:25], v[64:65], v[24:25]                  // 000000006140: D3B14018 18023140
	v_pk_mul_f32 v[26:27], v[64:65], v[26:27]                  // 000000006148: D3B1401A 18023540
	v_mul_f32_dpp v24, v66, v24 row_newbcast:8 row_mask:0xf bank_mask:0xf// 000000006150: 0A3030FA FF015842
	v_mul_f32_dpp v25, v66, v25 row_newbcast:9 row_mask:0xf bank_mask:0xf// 000000006158: 0A3232FA FF015942
	v_mul_f32_dpp v26, v66, v26 row_newbcast:10 row_mask:0xf bank_mask:0xf// 000000006160: 0A3434FA FF015A42
	v_mul_f32_dpp v27, v66, v27 row_newbcast:11 row_mask:0xf bank_mask:0xf// 000000006168: 0A3636FA FF015B42
	v_pk_mul_f32 v[28:29], v[64:65], v[28:29]                  // 000000006170: D3B1401C 18023940
	v_pk_mul_f32 v[30:31], v[64:65], v[30:31]                  // 000000006178: D3B1401E 18023D40
	v_mul_f32_dpp v28, v66, v28 row_newbcast:12 row_mask:0xf bank_mask:0xf// 000000006180: 0A3838FA FF015C42
	v_mul_f32_dpp v29, v66, v29 row_newbcast:13 row_mask:0xf bank_mask:0xf// 000000006188: 0A3A3AFA FF015D42
	v_mul_f32_dpp v30, v66, v30 row_newbcast:14 row_mask:0xf bank_mask:0xf// 000000006190: 0A3C3CFA FF015E42
	v_mul_f32_dpp v31, v66, v31 row_newbcast:15 row_mask:0xf bank_mask:0xf// 000000006198: 0A3E3EFA FF015F42
	buffer_load_dwordx4 a[48:51], v108, s[12:15], 0 offen offset:2048// 0000000061A0: E05C1800 8083306C
	v_mov_b32_e32 v92, v16                                     // 0000000061A8: 7EB80310
	v_max3_f32 v92, v16, v17, v92                              // 0000000061AC: D1D3005C 05722310
	v_max3_f32 v92, v18, v19, v92                              // 0000000061B4: D1D3005C 05722712
	v_max3_f32 v92, v20, v21, v92                              // 0000000061BC: D1D3005C 05722B14
	v_max3_f32 v92, v22, v23, v92                              // 0000000061C4: D1D3005C 05722F16
	v_max3_f32 v92, v24, v25, v92                              // 0000000061CC: D1D3005C 05723318
	v_max3_f32 v92, v26, v27, v92                              // 0000000061D4: D1D3005C 0572371A
	v_max3_f32 v92, v28, v29, v92                              // 0000000061DC: D1D3005C 05723B1C
	v_max3_f32 v92, v30, v31, v92                              // 0000000061E4: D1D3005C 05723F1E
	ds_write_b32 v124, v92                                     // 0000000061EC: D81A0000 00005C7C
	v_pk_mul_f32 v[56:57], v[94:95], v[56:57]                  // 0000000061F4: D3B14038 1802715E
	v_pk_mul_f32 v[58:59], v[94:95], v[58:59]                  // 0000000061FC: D3B1403A 1802755E
	v_pk_mul_f32 v[60:61], v[94:95], v[60:61]                  // 000000006204: D3B1403C 1802795E
	v_pk_mul_f32 v[62:63], v[94:95], v[62:63]                  // 00000000620C: D3B1403E 18027D5E
	buffer_load_dwordx4 a[52:55], v109, s[12:15], 0 offen offset:2048// 000000006214: E05C1800 8083346D
	s_waitcnt lgkmcnt(0)                                       // 00000000621C: BF8CC07F
	s_barrier                                                  // 000000006220: BF8A0000
	v_pk_mul_f32 v[48:49], v[70:71], v[48:49]                  // 000000006224: D3B14030 18026146
	v_pk_mul_f32 v[50:51], v[70:71], v[50:51]                  // 00000000622C: D3B14032 18026546
	v_pk_mul_f32 v[52:53], v[70:71], v[52:53]                  // 000000006234: D3B14034 18026946
	v_pk_mul_f32 v[54:55], v[70:71], v[54:55]                  // 00000000623C: D3B14036 18026D46
	buffer_load_dwordx4 a[56:59], v108, s[12:15], 0 offen offset:3072// 000000006244: E05C1C00 8083386C
	ds_read_b32 v76, v125                                      // 00000000624C: D86C0000 4C00007D
	ds_read_b32 v77, v125 offset:64                            // 000000006254: D86C0040 4D00007D
	ds_read_b32 v78, v125 offset:128                           // 00000000625C: D86C0080 4E00007D
	ds_read_b32 v79, v125 offset:192                           // 000000006264: D86C00C0 4F00007D
	ds_read_b32 v80, v125 offset:256                           // 00000000626C: D86C0100 5000007D
	ds_read_b32 v81, v125 offset:320                           // 000000006274: D86C0140 5100007D
	ds_read_b32 v82, v125 offset:384                           // 00000000627C: D86C0180 5200007D
	ds_read_b32 v83, v125 offset:448                           // 000000006284: D86C01C0 5300007D
	ds_read_b32 v84, v125 offset:512                           // 00000000628C: D86C0200 5400007D
	ds_read_b32 v85, v125 offset:576                           // 000000006294: D86C0240 5500007D
	ds_read_b32 v86, v125 offset:640                           // 00000000629C: D86C0280 5600007D
	ds_read_b32 v87, v125 offset:704                           // 0000000062A4: D86C02C0 5700007D
	ds_read_b32 v88, v125 offset:768                           // 0000000062AC: D86C0300 5800007D
	ds_read_b32 v89, v125 offset:832                           // 0000000062B4: D86C0340 5900007D
	ds_read_b32 v90, v125 offset:896                           // 0000000062BC: D86C0380 5A00007D
	ds_read_b32 v91, v125 offset:960                           // 0000000062C4: D86C03C0 5B00007D
	buffer_load_dwordx4 a[60:63], v109, s[12:15], 0 offen offset:3072// 0000000062CC: E05C1C00 80833C6D
	s_waitcnt lgkmcnt(0)                                       // 0000000062D4: BF8CC07F
	v_max3_f32 v92, v76, v77, v92                              // 0000000062D8: D1D3005C 05729B4C
	v_max3_f32 v92, v78, v79, v92                              // 0000000062E0: D1D3005C 05729F4E
	v_max3_f32 v92, v80, v81, v92                              // 0000000062E8: D1D3005C 0572A350
	v_max3_f32 v92, v82, v83, v92                              // 0000000062F0: D1D3005C 0572A752
	v_max3_f32 v92, v84, v85, v92                              // 0000000062F8: D1D3005C 0572AB54
	v_max3_f32 v92, v86, v87, v92                              // 000000006300: D1D3005C 0572AF56
	v_max3_f32 v92, v88, v89, v92                              // 000000006308: D1D3005C 0572B358
	v_max3_f32 v92, v90, v91, v92                              // 000000006310: D1D3005C 0572B75A
	v_max_f32_e32 v97, v92, v96                                // 000000006318: 16C2C15C
	v_mul_f32_e64 v72, -s58, v97                               // 00000000631C: D1050048 2002C23A
	v_mov_b32_e32 v73, v72                                     // 000000006324: 7E920348
	v_pk_fma_f32 v[16:17], v[16:17], s[88:89], v[72:73]        // 000000006328: D3B04010 1D20B110
	v_pk_fma_f32 v[18:19], v[18:19], s[88:89], v[72:73]        // 000000006330: D3B04012 1D20B112
	v_exp_f32_e32 v16, v16                                     // 000000006338: 7E204110
	v_exp_f32_e32 v17, v17                                     // 00000000633C: 7E224111
	v_exp_f32_e32 v18, v18                                     // 000000006340: 7E244112
	v_exp_f32_e32 v19, v19                                     // 000000006344: 7E264113
	v_pk_fma_f32 v[20:21], v[20:21], s[88:89], v[72:73]        // 000000006348: D3B04014 1D20B114
	v_pk_fma_f32 v[22:23], v[22:23], s[88:89], v[72:73]        // 000000006350: D3B04016 1D20B116
	v_exp_f32_e32 v20, v20                                     // 000000006358: 7E284114
	v_exp_f32_e32 v21, v21                                     // 00000000635C: 7E2A4115
	v_exp_f32_e32 v22, v22                                     // 000000006360: 7E2C4116
	v_exp_f32_e32 v23, v23                                     // 000000006364: 7E2E4117
	v_pk_fma_f32 v[24:25], v[24:25], s[88:89], v[72:73]        // 000000006368: D3B04018 1D20B118
	v_pk_fma_f32 v[26:27], v[26:27], s[88:89], v[72:73]        // 000000006370: D3B0401A 1D20B11A
	v_exp_f32_e32 v24, v24                                     // 000000006378: 7E304118
	v_exp_f32_e32 v25, v25                                     // 00000000637C: 7E324119
	v_exp_f32_e32 v26, v26                                     // 000000006380: 7E34411A
	v_exp_f32_e32 v27, v27                                     // 000000006384: 7E36411B
	v_pk_fma_f32 v[28:29], v[28:29], s[88:89], v[72:73]        // 000000006388: D3B0401C 1D20B11C
	v_pk_fma_f32 v[30:31], v[30:31], s[88:89], v[72:73]        // 000000006390: D3B0401E 1D20B11E
	v_exp_f32_e32 v28, v28                                     // 000000006398: 7E38411C
	v_exp_f32_e32 v29, v29                                     // 00000000639C: 7E3A411D
	v_exp_f32_e32 v30, v30                                     // 0000000063A0: 7E3C411E
	v_exp_f32_e32 v31, v31                                     // 0000000063A4: 7E3E411F
	v_mul_f32_dpp v32, v68, v16 row_newbcast:0 row_mask:0xf bank_mask:0xf// 0000000063A8: 0A4020FA FF015044
	v_mul_f32_dpp v33, v68, v17 row_newbcast:1 row_mask:0xf bank_mask:0xf// 0000000063B0: 0A4222FA FF015144
	v_mul_f32_dpp v34, v68, v18 row_newbcast:2 row_mask:0xf bank_mask:0xf// 0000000063B8: 0A4424FA FF015244
	v_mul_f32_dpp v35, v68, v19 row_newbcast:3 row_mask:0xf bank_mask:0xf// 0000000063C0: 0A4626FA FF015344
	v_mul_f32_dpp v36, v68, v20 row_newbcast:4 row_mask:0xf bank_mask:0xf// 0000000063C8: 0A4828FA FF015444
	v_mul_f32_dpp v37, v68, v21 row_newbcast:5 row_mask:0xf bank_mask:0xf// 0000000063D0: 0A4A2AFA FF015544
	v_mul_f32_dpp v38, v68, v22 row_newbcast:6 row_mask:0xf bank_mask:0xf// 0000000063D8: 0A4C2CFA FF015644
	v_mul_f32_dpp v39, v68, v23 row_newbcast:7 row_mask:0xf bank_mask:0xf// 0000000063E0: 0A4E2EFA FF015744
	v_mul_f32_dpp v40, v68, v24 row_newbcast:8 row_mask:0xf bank_mask:0xf// 0000000063E8: 0A5030FA FF015844
	v_mul_f32_dpp v41, v68, v25 row_newbcast:9 row_mask:0xf bank_mask:0xf// 0000000063F0: 0A5232FA FF015944
	v_mul_f32_dpp v42, v68, v26 row_newbcast:10 row_mask:0xf bank_mask:0xf// 0000000063F8: 0A5434FA FF015A44
	v_mul_f32_dpp v43, v68, v27 row_newbcast:11 row_mask:0xf bank_mask:0xf// 000000006400: 0A5636FA FF015B44
	v_mul_f32_dpp v44, v68, v28 row_newbcast:12 row_mask:0xf bank_mask:0xf// 000000006408: 0A5838FA FF015C44
	v_mul_f32_dpp v45, v68, v29 row_newbcast:13 row_mask:0xf bank_mask:0xf// 000000006410: 0A5A3AFA FF015D44
	v_mul_f32_dpp v46, v68, v30 row_newbcast:14 row_mask:0xf bank_mask:0xf// 000000006418: 0A5C3CFA FF015E44
	v_mul_f32_dpp v47, v68, v31 row_newbcast:15 row_mask:0xf bank_mask:0xf// 000000006420: 0A5E3EFA FF015F44
	v_mov_b32_e32 v92, 0x358637bd                              // 000000006428: 7EB802FF 358637BD
	v_max3_f32 v92, |v32|, |v33|, v92                          // 000000006430: D1D3035C 05724320
	v_max3_f32 v92, |v34|, |v35|, v92                          // 000000006438: D1D3035C 05724722
	v_max3_f32 v92, |v36|, |v37|, v92                          // 000000006440: D1D3035C 05724B24
	v_max3_f32 v92, |v38|, |v39|, v92                          // 000000006448: D1D3035C 05724F26
	v_max3_f32 v92, |v40|, |v41|, v92                          // 000000006450: D1D3035C 05725328
	v_max3_f32 v92, |v42|, |v43|, v92                          // 000000006458: D1D3035C 0572572A
	v_max3_f32 v92, |v44|, |v45|, v92                          // 000000006460: D1D3035C 05725B2C
	v_max3_f32 v92, |v46|, |v47|, v92                          // 000000006468: D1D3035C 05725F2E
	ds_write_b32 v124, v92 offset:1280                         // 000000006470: D81A0500 00005C7C
	buffer_load_dword v67, v114, s[24:27], 0 offen             // 000000006478: E0501000 80064372
	v_sub_f32_e32 v94, v96, v97                                // 000000006480: 04BCC360
	v_cmp_eq_u32_e64 s[86:87], v105, v96                       // 000000006484: D0CA0056 0002C169
	s_nop 0                                                    // 00000000648C: BF800000
	v_cndmask_b32_e64 v94, v94, 0, s[86:87]                    // 000000006490: D100005E 0159015E
	v_mov_b32_e32 v96, v97                                     // 000000006498: 7EC00361
	v_mul_f32_e32 v94, s58, v94                                // 00000000649C: 0ABCBC3A
	v_exp_f32_e32 v94, v94                                     // 0000000064A0: 7EBC415E
	s_nop 0                                                    // 0000000064A4: BF800000
	v_mov_b32_e32 v95, v94                                     // 0000000064A8: 7EBE035E
	buffer_load_dword v69, v115, s[28:31], 0 offen             // 0000000064AC: E0501000 80074573
	s_waitcnt lgkmcnt(0)                                       // 0000000064B4: BF8CC07F
	s_barrier                                                  // 0000000064B8: BF8A0000
	v_mul_f32_e32 v98, v94, v98                                // 0000000064BC: 0AC4C55E
	v_add_f32_e32 v98, v16, v98                                // 0000000064C0: 02C4C510
	v_add_f32_e32 v98, v17, v98                                // 0000000064C4: 02C4C511
	v_add_f32_e32 v98, v18, v98                                // 0000000064C8: 02C4C512
	v_add_f32_e32 v98, v19, v98                                // 0000000064CC: 02C4C513
	v_add_f32_e32 v98, v20, v98                                // 0000000064D0: 02C4C514
	v_add_f32_e32 v98, v21, v98                                // 0000000064D4: 02C4C515
	v_add_f32_e32 v98, v22, v98                                // 0000000064D8: 02C4C516
	v_add_f32_e32 v98, v23, v98                                // 0000000064DC: 02C4C517
	v_add_f32_e32 v98, v24, v98                                // 0000000064E0: 02C4C518
	v_add_f32_e32 v98, v25, v98                                // 0000000064E4: 02C4C519
	v_add_f32_e32 v98, v26, v98                                // 0000000064E8: 02C4C51A
	v_add_f32_e32 v98, v27, v98                                // 0000000064EC: 02C4C51B
	v_add_f32_e32 v98, v28, v98                                // 0000000064F0: 02C4C51C
	v_add_f32_e32 v98, v29, v98                                // 0000000064F4: 02C4C51D
	v_add_f32_e32 v98, v30, v98                                // 0000000064F8: 02C4C51E
	v_add_f32_e32 v98, v31, v98                                // 0000000064FC: 02C4C51F
	buffer_load_dwordx4 a[100:103], v111, s[16:19], 0 offen    // 000000006500: E05C1000 8084646F
	ds_read_b32 v76, v125 offset:1280                          // 000000006508: D86C0500 4C00007D
	ds_read_b32 v77, v125 offset:1344                          // 000000006510: D86C0540 4D00007D
	ds_read_b32 v78, v125 offset:1408                          // 000000006518: D86C0580 4E00007D
	ds_read_b32 v79, v125 offset:1472                          // 000000006520: D86C05C0 4F00007D
	ds_read_b32 v80, v125 offset:1536                          // 000000006528: D86C0600 5000007D
	ds_read_b32 v81, v125 offset:1600                          // 000000006530: D86C0640 5100007D
	ds_read_b32 v82, v125 offset:1664                          // 000000006538: D86C0680 5200007D
	ds_read_b32 v83, v125 offset:1728                          // 000000006540: D86C06C0 5300007D
	ds_read_b32 v84, v125 offset:1792                          // 000000006548: D86C0700 5400007D
	ds_read_b32 v85, v125 offset:1856                          // 000000006550: D86C0740 5500007D
	ds_read_b32 v86, v125 offset:1920                          // 000000006558: D86C0780 5600007D
	ds_read_b32 v87, v125 offset:1984                          // 000000006560: D86C07C0 5700007D
	ds_read_b32 v88, v125 offset:2048                          // 000000006568: D86C0800 5800007D
	ds_read_b32 v89, v125 offset:2112                          // 000000006570: D86C0840 5900007D
	ds_read_b32 v90, v125 offset:2176                          // 000000006578: D86C0880 5A00007D
	ds_read_b32 v91, v125 offset:2240                          // 000000006580: D86C08C0 5B00007D
	buffer_load_dwordx4 a[96:99], v110, s[16:19], 0 offen      // 000000006588: E05C1000 8084606E
	s_waitcnt lgkmcnt(0)                                       // 000000006590: BF8CC07F
	v_max3_f32 v92, v76, v77, v92                              // 000000006594: D1D3005C 05729B4C
	v_max3_f32 v92, v78, v79, v92                              // 00000000659C: D1D3005C 05729F4E
	v_max3_f32 v92, v80, v81, v92                              // 0000000065A4: D1D3005C 0572A350
	v_max3_f32 v92, v82, v83, v92                              // 0000000065AC: D1D3005C 0572A752
	v_max3_f32 v92, v84, v85, v92                              // 0000000065B4: D1D3005C 0572AB54
	v_max3_f32 v92, v86, v87, v92                              // 0000000065BC: D1D3005C 0572AF56
	v_max3_f32 v92, v88, v89, v92                              // 0000000065C4: D1D3005C 0572B358
	v_max3_f32 v92, v90, v91, v92                              // 0000000065CC: D1D3005C 0572B75A
	v_rcp_f32_e32 v92, v92                                     // 0000000065D4: 7EB8455C
	s_nop 0                                                    // 0000000065D8: BF800000
	v_mul_f32_e32 v92, 0x43700000, v92                         // 0000000065DC: 0AB8B8FF 43700000
	v_mov_b32_e32 v93, v92                                     // 0000000065E4: 7EBA035C
	v_pk_mul_f32 v[16:17], v[92:93], v[32:33]                  // 0000000065E8: D3B14010 1802415C
	v_pk_mul_f32 v[18:19], v[92:93], v[34:35]                  // 0000000065F0: D3B14012 1802455C
	v_pk_mul_f32 v[20:21], v[92:93], v[36:37]                  // 0000000065F8: D3B14014 1802495C
	v_pk_mul_f32 v[22:23], v[92:93], v[38:39]                  // 000000006600: D3B14016 18024D5C
	v_pk_mul_f32 v[24:25], v[92:93], v[40:41]                  // 000000006608: D3B14018 1802515C
	v_pk_mul_f32 v[26:27], v[92:93], v[42:43]                  // 000000006610: D3B1401A 1802555C
	v_pk_mul_f32 v[28:29], v[92:93], v[44:45]                  // 000000006618: D3B1401C 1802595C
	v_pk_mul_f32 v[30:31], v[92:93], v[46:47]                  // 000000006620: D3B1401E 18025D5C
	v_cvt_pk_fp8_f32 v16, v16, v17                             // 000000006628: D2A20010 00022310
	v_cvt_pk_fp8_f32 v16, v18, v19 op_sel:[0,0,1]              // 000000006630: D2A24010 00022712
	v_cvt_pk_fp8_f32 v17, v20, v21                             // 000000006638: D2A20011 00022B14
	v_cvt_pk_fp8_f32 v17, v22, v23 op_sel:[0,0,1]              // 000000006640: D2A24011 00022F16
	v_cvt_pk_fp8_f32 v18, v24, v25                             // 000000006648: D2A20012 00023318
	v_cvt_pk_fp8_f32 v18, v26, v27 op_sel:[0,0,1]              // 000000006650: D2A24012 0002371A
	v_cvt_pk_fp8_f32 v19, v28, v29                             // 000000006658: D2A20013 00023B1C
	v_cvt_pk_fp8_f32 v19, v30, v31 op_sel:[0,0,1]              // 000000006660: D2A24013 00023F1E
	ds_write_b32 v126, v16 offset:2560                         // 000000006668: D81A0A00 0000107E
	ds_write_b32 v126, v17 offset:3584                         // 000000006670: D81A0E00 0000117E
	ds_write_b32 v126, v18 offset:4608                         // 000000006678: D81A1200 0000127E
	ds_write_b32 v126, v19 offset:5632                         // 000000006680: D81A1600 0000137E
	v_rcp_f32_e32 v70, v92                                     // 000000006688: 7E8C455C
	s_nop 0                                                    // 00000000668C: BF800000
	v_mov_b32_e32 v71, v70                                     // 000000006690: 7E8E0346
	buffer_load_dwordx4 a[104:107], v112, s[16:19], 0 offen    // 000000006694: E05C1000 80846870
	v_pk_add_f32 v[56:57], v[56:57], v[48:49]                  // 00000000669C: D3B24038 18026138
	v_pk_add_f32 v[58:59], v[58:59], v[50:51]                  // 0000000066A4: D3B2403A 1802653A
	v_pk_add_f32 v[60:61], v[60:61], v[52:53]                  // 0000000066AC: D3B2403C 1802693C
	v_pk_add_f32 v[62:63], v[62:63], v[54:55]                  // 0000000066B4: D3B2403E 18026D3E
	s_waitcnt lgkmcnt(0)                                       // 0000000066BC: BF8CC07F
	s_barrier                                                  // 0000000066C0: BF8A0000
	ds_read_b128 v[16:19], v127 offset:2560                    // 0000000066C4: D9FE0A00 1000007F
	ds_read_b128 v[20:23], v127 offset:3584                    // 0000000066CC: D9FE0E00 1400007F
	ds_read_b128 v[24:27], v127 offset:4608                    // 0000000066D4: D9FE1200 1800007F
	ds_read_b128 v[28:31], v127 offset:5632                    // 0000000066DC: D9FE1600 1C00007F
	buffer_load_dwordx4 a[108:111], v113, s[16:19], 0 offen    // 0000000066E4: E05C1000 80846C71
	s_waitcnt vmcnt(14)                                        // 0000000066EC: BF8C0F7E
	s_waitcnt lgkmcnt(3)                                       // 0000000066F0: BF8CC37F
	v_mfma_f32_16x16x32_fp8_fp8 v[48:51], a[64:65], v[16:17], 0// 0000000066F4: D3F30030 0A022140
	v_mfma_f32_16x16x32_fp8_fp8 v[52:55], a[80:81], v[16:17], 0// 0000000066FC: D3F30034 0A022150
	v_mfma_f32_16x16x32_fp8_fp8 v[48:51], a[66:67], v[18:19], v[48:51]// 000000006704: D3F30030 0CC22542
	v_mfma_f32_16x16x32_fp8_fp8 v[52:55], a[82:83], v[18:19], v[52:55]// 00000000670C: D3F30034 0CD22552
	buffer_load_dwordx4 a[112:115], v110, s[16:19], 0 offen offset:1024// 000000006714: E05C1400 8084706E
	s_waitcnt lgkmcnt(2)                                       // 00000000671C: BF8CC27F
	v_mfma_f32_16x16x32_fp8_fp8 v[48:51], a[68:69], v[20:21], v[48:51]// 000000006720: D3F30030 0CC22944
	v_mfma_f32_16x16x32_fp8_fp8 v[52:55], a[84:85], v[20:21], v[52:55]// 000000006728: D3F30034 0CD22954
	v_mfma_f32_16x16x32_fp8_fp8 v[48:51], a[70:71], v[22:23], v[48:51]// 000000006730: D3F30030 0CC22D46
	v_mfma_f32_16x16x32_fp8_fp8 v[52:55], a[86:87], v[22:23], v[52:55]// 000000006738: D3F30034 0CD22D56
	buffer_load_dwordx4 a[116:119], v111, s[16:19], 0 offen offset:1024// 000000006740: E05C1400 8084746F
	s_waitcnt lgkmcnt(1)                                       // 000000006748: BF8CC17F
	v_mfma_f32_16x16x32_fp8_fp8 v[48:51], a[72:73], v[24:25], v[48:51]// 00000000674C: D3F30030 0CC23148
	v_mfma_f32_16x16x32_fp8_fp8 v[52:55], a[88:89], v[24:25], v[52:55]// 000000006754: D3F30034 0CD23158
	v_mfma_f32_16x16x32_fp8_fp8 v[48:51], a[74:75], v[26:27], v[48:51]// 00000000675C: D3F30030 0CC2354A
	v_mfma_f32_16x16x32_fp8_fp8 v[52:55], a[90:91], v[26:27], v[52:55]// 000000006764: D3F30034 0CD2355A
	buffer_load_dwordx4 a[120:123], v112, s[16:19], 0 offen offset:1024// 00000000676C: E05C1400 80847870
	s_waitcnt lgkmcnt(0)                                       // 000000006774: BF8CC07F
	v_mfma_f32_16x16x32_fp8_fp8 v[48:51], a[76:77], v[28:29], v[48:51]// 000000006778: D3F30030 0CC2394C
	v_mfma_f32_16x16x32_fp8_fp8 v[52:55], a[92:93], v[28:29], v[52:55]// 000000006780: D3F30034 0CD2395C
	v_mfma_f32_16x16x32_fp8_fp8 v[48:51], a[78:79], v[30:31], v[48:51]// 000000006788: D3F30030 0CC23D4E
	v_mfma_f32_16x16x32_fp8_fp8 v[52:55], a[94:95], v[30:31], v[52:55]// 000000006790: D3F30034 0CD23D5E
	buffer_load_dwordx4 a[124:127], v113, s[16:19], 0 offen offset:1024// 000000006798: E05C1400 80847C71
	s_addk_i32 s56, 0x100                                      // 0000000067A0: B7380100
	s_cmp_lt_i32 s56, s57                                      // 0000000067A4: BF043938
	s_cbranch_scc0 label_1921                                  // 0000000067A8: BF8408F6
	s_waitcnt vmcnt(10)                                        // 0000000067AC: BF8C0F7A
	v_mfma_f32_16x16x32_fp8_fp8 v[16:19], a[32:33], v[8:9], 0  // 0000000067B0: D3F30010 0A021120
	s_add_u32 s12, s78, s69                                    // 0000000067B8: 800C454E
	s_addc_u32 s13, s79, 0                                     // 0000000067BC: 820D804F
	v_mfma_f32_16x16x32_fp8_fp8 v[16:19], a[34:35], v[10:11], v[16:19]// 0000000067C0: D3F30010 0C421522
	buffer_load_dwordx4 a[0:3], v108, s[12:15], 0 offen        // 0000000067C8: E05C1000 8083006C
	v_mfma_f32_16x16x32_fp8_fp8 v[16:19], a[36:37], v[12:13], v[16:19]// 0000000067D0: D3F30010 0C421924
	s_add_u32 s16, s80, s70                                    // 0000000067D8: 80104650
	s_addc_u32 s17, s81, 0                                     // 0000000067DC: 82118051
	v_mfma_f32_16x16x32_fp8_fp8 v[16:19], a[38:39], v[14:15], v[16:19]// 0000000067E0: D3F30010 0C421D26
	s_add_u32 s24, s82, s71                                    // 0000000067E8: 80184752
	s_addc_u32 s25, s83, 0                                     // 0000000067EC: 82198053
	v_mfma_f32_16x16x32_fp8_fp8 v[20:23], a[40:41], v[8:9], 0  // 0000000067F0: D3F30014 0A021128
	s_add_u32 s28, s84, s71                                    // 0000000067F8: 801C4754
	s_addc_u32 s29, s85, 0                                     // 0000000067FC: 821D8055
	v_mfma_f32_16x16x32_fp8_fp8 v[20:23], a[42:43], v[10:11], v[20:23]// 000000006800: D3F30014 0C52152A
	buffer_load_dwordx4 a[4:7], v109, s[12:15], 0 offen        // 000000006808: E05C1000 8083046D
	v_mfma_f32_16x16x32_fp8_fp8 v[20:23], a[44:45], v[12:13], v[20:23]// 000000006810: D3F30014 0C52192C
	s_add_u32 s69, s69, 0x1000                                 // 000000006818: 8045FF45 00001000
	s_add_u32 s70, s70, 0x8000                                 // 000000006820: 8046FF46 00008000
	v_mfma_f32_16x16x32_fp8_fp8 v[20:23], a[46:47], v[14:15], v[20:23]// 000000006828: D3F30014 0C521D2E
	s_add_u32 s71, s71, 0x400                                  // 000000006830: 8047FF47 00000400
	v_mfma_f32_16x16x32_fp8_fp8 v[24:27], a[48:49], v[8:9], 0  // 000000006838: D3F30018 0A021130
	v_mfma_f32_16x16x32_fp8_fp8 v[24:27], a[50:51], v[10:11], v[24:27]// 000000006840: D3F30018 0C621532
	buffer_load_dwordx4 a[8:11], v108, s[12:15], 0 offen offset:1024// 000000006848: E05C1400 8083086C
	v_mfma_f32_16x16x32_fp8_fp8 v[24:27], a[52:53], v[12:13], v[24:27]// 000000006850: D3F30018 0C621934
	v_mfma_f32_16x16x32_fp8_fp8 v[24:27], a[54:55], v[14:15], v[24:27]// 000000006858: D3F30018 0C621D36
	v_mfma_f32_16x16x32_fp8_fp8 v[28:31], a[56:57], v[8:9], 0  // 000000006860: D3F3001C 0A021138
	v_mfma_f32_16x16x32_fp8_fp8 v[28:31], a[58:59], v[10:11], v[28:31]// 000000006868: D3F3001C 0C72153A
	buffer_load_dwordx4 a[12:15], v109, s[12:15], 0 offen offset:1024// 000000006870: E05C1400 80830C6D
	v_mfma_f32_16x16x32_fp8_fp8 v[28:31], a[60:61], v[12:13], v[28:31]// 000000006878: D3F3001C 0C72193C
	v_mfma_f32_16x16x32_fp8_fp8 v[28:31], a[62:63], v[14:15], v[28:31]// 000000006880: D3F3001C 0C721D3E
	s_waitcnt vmcnt(12)                                        // 000000006888: BF8C0F7C
	v_pk_mul_f32 v[16:17], v[64:65], v[16:17]                  // 00000000688C: D3B14010 18022140
	v_pk_mul_f32 v[18:19], v[64:65], v[18:19]                  // 000000006894: D3B14012 18022540
	v_mul_f32_dpp v16, v67, v16 row_newbcast:0 row_mask:0xf bank_mask:0xf// 00000000689C: 0A2020FA FF015043
	v_mul_f32_dpp v17, v67, v17 row_newbcast:1 row_mask:0xf bank_mask:0xf// 0000000068A4: 0A2222FA FF015143
	v_mul_f32_dpp v18, v67, v18 row_newbcast:2 row_mask:0xf bank_mask:0xf// 0000000068AC: 0A2424FA FF015243
	v_mul_f32_dpp v19, v67, v19 row_newbcast:3 row_mask:0xf bank_mask:0xf// 0000000068B4: 0A2626FA FF015343
	v_pk_mul_f32 v[20:21], v[64:65], v[20:21]                  // 0000000068BC: D3B14014 18022940
	v_pk_mul_f32 v[22:23], v[64:65], v[22:23]                  // 0000000068C4: D3B14016 18022D40
	v_mul_f32_dpp v20, v67, v20 row_newbcast:4 row_mask:0xf bank_mask:0xf// 0000000068CC: 0A2828FA FF015443
	v_mul_f32_dpp v21, v67, v21 row_newbcast:5 row_mask:0xf bank_mask:0xf// 0000000068D4: 0A2A2AFA FF015543
	v_mul_f32_dpp v22, v67, v22 row_newbcast:6 row_mask:0xf bank_mask:0xf// 0000000068DC: 0A2C2CFA FF015643
	v_mul_f32_dpp v23, v67, v23 row_newbcast:7 row_mask:0xf bank_mask:0xf// 0000000068E4: 0A2E2EFA FF015743
	v_pk_mul_f32 v[24:25], v[64:65], v[24:25]                  // 0000000068EC: D3B14018 18023140
	v_pk_mul_f32 v[26:27], v[64:65], v[26:27]                  // 0000000068F4: D3B1401A 18023540
	v_mul_f32_dpp v24, v67, v24 row_newbcast:8 row_mask:0xf bank_mask:0xf// 0000000068FC: 0A3030FA FF015843
	v_mul_f32_dpp v25, v67, v25 row_newbcast:9 row_mask:0xf bank_mask:0xf// 000000006904: 0A3232FA FF015943
	v_mul_f32_dpp v26, v67, v26 row_newbcast:10 row_mask:0xf bank_mask:0xf// 00000000690C: 0A3434FA FF015A43
	v_mul_f32_dpp v27, v67, v27 row_newbcast:11 row_mask:0xf bank_mask:0xf// 000000006914: 0A3636FA FF015B43
	v_pk_mul_f32 v[28:29], v[64:65], v[28:29]                  // 00000000691C: D3B1401C 18023940
	v_pk_mul_f32 v[30:31], v[64:65], v[30:31]                  // 000000006924: D3B1401E 18023D40
	v_mul_f32_dpp v28, v67, v28 row_newbcast:12 row_mask:0xf bank_mask:0xf// 00000000692C: 0A3838FA FF015C43
	v_mul_f32_dpp v29, v67, v29 row_newbcast:13 row_mask:0xf bank_mask:0xf// 000000006934: 0A3A3AFA FF015D43
	v_mul_f32_dpp v30, v67, v30 row_newbcast:14 row_mask:0xf bank_mask:0xf// 00000000693C: 0A3C3CFA FF015E43
	v_mul_f32_dpp v31, v67, v31 row_newbcast:15 row_mask:0xf bank_mask:0xf// 000000006944: 0A3E3EFA FF015F43
	buffer_load_dwordx4 a[16:19], v108, s[12:15], 0 offen offset:2048// 00000000694C: E05C1800 8083106C
	v_mov_b32_e32 v92, v16                                     // 000000006954: 7EB80310
	v_max3_f32 v92, v16, v17, v92                              // 000000006958: D1D3005C 05722310
	v_max3_f32 v92, v18, v19, v92                              // 000000006960: D1D3005C 05722712
	v_max3_f32 v92, v20, v21, v92                              // 000000006968: D1D3005C 05722B14
	v_max3_f32 v92, v22, v23, v92                              // 000000006970: D1D3005C 05722F16
	v_max3_f32 v92, v24, v25, v92                              // 000000006978: D1D3005C 05723318
	v_max3_f32 v92, v26, v27, v92                              // 000000006980: D1D3005C 0572371A
	v_max3_f32 v92, v28, v29, v92                              // 000000006988: D1D3005C 05723B1C
	v_max3_f32 v92, v30, v31, v92                              // 000000006990: D1D3005C 05723F1E
	ds_write_b32 v124, v92                                     // 000000006998: D81A0000 00005C7C
	v_pk_mul_f32 v[56:57], v[94:95], v[56:57]                  // 0000000069A0: D3B14038 1802715E
	v_pk_mul_f32 v[58:59], v[94:95], v[58:59]                  // 0000000069A8: D3B1403A 1802755E
	v_pk_mul_f32 v[60:61], v[94:95], v[60:61]                  // 0000000069B0: D3B1403C 1802795E
	v_pk_mul_f32 v[62:63], v[94:95], v[62:63]                  // 0000000069B8: D3B1403E 18027D5E
	buffer_load_dwordx4 a[20:23], v109, s[12:15], 0 offen offset:2048// 0000000069C0: E05C1800 8083146D
	s_waitcnt lgkmcnt(0)                                       // 0000000069C8: BF8CC07F
	s_barrier                                                  // 0000000069CC: BF8A0000
	v_pk_mul_f32 v[48:49], v[70:71], v[48:49]                  // 0000000069D0: D3B14030 18026146
	v_pk_mul_f32 v[50:51], v[70:71], v[50:51]                  // 0000000069D8: D3B14032 18026546
	v_pk_mul_f32 v[52:53], v[70:71], v[52:53]                  // 0000000069E0: D3B14034 18026946
	v_pk_mul_f32 v[54:55], v[70:71], v[54:55]                  // 0000000069E8: D3B14036 18026D46
	buffer_load_dwordx4 a[24:27], v108, s[12:15], 0 offen offset:3072// 0000000069F0: E05C1C00 8083186C
	ds_read_b32 v76, v125                                      // 0000000069F8: D86C0000 4C00007D
	ds_read_b32 v77, v125 offset:64                            // 000000006A00: D86C0040 4D00007D
	ds_read_b32 v78, v125 offset:128                           // 000000006A08: D86C0080 4E00007D
	ds_read_b32 v79, v125 offset:192                           // 000000006A10: D86C00C0 4F00007D
	ds_read_b32 v80, v125 offset:256                           // 000000006A18: D86C0100 5000007D
	ds_read_b32 v81, v125 offset:320                           // 000000006A20: D86C0140 5100007D
	ds_read_b32 v82, v125 offset:384                           // 000000006A28: D86C0180 5200007D
	ds_read_b32 v83, v125 offset:448                           // 000000006A30: D86C01C0 5300007D
	ds_read_b32 v84, v125 offset:512                           // 000000006A38: D86C0200 5400007D
	ds_read_b32 v85, v125 offset:576                           // 000000006A40: D86C0240 5500007D
	ds_read_b32 v86, v125 offset:640                           // 000000006A48: D86C0280 5600007D
	ds_read_b32 v87, v125 offset:704                           // 000000006A50: D86C02C0 5700007D
	ds_read_b32 v88, v125 offset:768                           // 000000006A58: D86C0300 5800007D
	ds_read_b32 v89, v125 offset:832                           // 000000006A60: D86C0340 5900007D
	ds_read_b32 v90, v125 offset:896                           // 000000006A68: D86C0380 5A00007D
	ds_read_b32 v91, v125 offset:960                           // 000000006A70: D86C03C0 5B00007D
	buffer_load_dwordx4 a[28:31], v109, s[12:15], 0 offen offset:3072// 000000006A78: E05C1C00 80831C6D
	s_waitcnt lgkmcnt(0)                                       // 000000006A80: BF8CC07F
	v_max3_f32 v92, v76, v77, v92                              // 000000006A84: D1D3005C 05729B4C
	v_max3_f32 v92, v78, v79, v92                              // 000000006A8C: D1D3005C 05729F4E
	v_max3_f32 v92, v80, v81, v92                              // 000000006A94: D1D3005C 0572A350
	v_max3_f32 v92, v82, v83, v92                              // 000000006A9C: D1D3005C 0572A752
	v_max3_f32 v92, v84, v85, v92                              // 000000006AA4: D1D3005C 0572AB54
	v_max3_f32 v92, v86, v87, v92                              // 000000006AAC: D1D3005C 0572AF56
	v_max3_f32 v92, v88, v89, v92                              // 000000006AB4: D1D3005C 0572B358
	v_max3_f32 v92, v90, v91, v92                              // 000000006ABC: D1D3005C 0572B75A
	v_max_f32_e32 v97, v92, v96                                // 000000006AC4: 16C2C15C
	v_mul_f32_e64 v72, -s58, v97                               // 000000006AC8: D1050048 2002C23A
	v_mov_b32_e32 v73, v72                                     // 000000006AD0: 7E920348
	v_pk_fma_f32 v[16:17], v[16:17], s[88:89], v[72:73]        // 000000006AD4: D3B04010 1D20B110
	v_pk_fma_f32 v[18:19], v[18:19], s[88:89], v[72:73]        // 000000006ADC: D3B04012 1D20B112
	v_exp_f32_e32 v16, v16                                     // 000000006AE4: 7E204110
	v_exp_f32_e32 v17, v17                                     // 000000006AE8: 7E224111
	v_exp_f32_e32 v18, v18                                     // 000000006AEC: 7E244112
	v_exp_f32_e32 v19, v19                                     // 000000006AF0: 7E264113
	v_pk_fma_f32 v[20:21], v[20:21], s[88:89], v[72:73]        // 000000006AF4: D3B04014 1D20B114
	v_pk_fma_f32 v[22:23], v[22:23], s[88:89], v[72:73]        // 000000006AFC: D3B04016 1D20B116
	v_exp_f32_e32 v20, v20                                     // 000000006B04: 7E284114
	v_exp_f32_e32 v21, v21                                     // 000000006B08: 7E2A4115
	v_exp_f32_e32 v22, v22                                     // 000000006B0C: 7E2C4116
	v_exp_f32_e32 v23, v23                                     // 000000006B10: 7E2E4117
	v_pk_fma_f32 v[24:25], v[24:25], s[88:89], v[72:73]        // 000000006B14: D3B04018 1D20B118
	v_pk_fma_f32 v[26:27], v[26:27], s[88:89], v[72:73]        // 000000006B1C: D3B0401A 1D20B11A
	v_exp_f32_e32 v24, v24                                     // 000000006B24: 7E304118
	v_exp_f32_e32 v25, v25                                     // 000000006B28: 7E324119
	v_exp_f32_e32 v26, v26                                     // 000000006B2C: 7E34411A
	v_exp_f32_e32 v27, v27                                     // 000000006B30: 7E36411B
	v_pk_fma_f32 v[28:29], v[28:29], s[88:89], v[72:73]        // 000000006B34: D3B0401C 1D20B11C
	v_pk_fma_f32 v[30:31], v[30:31], s[88:89], v[72:73]        // 000000006B3C: D3B0401E 1D20B11E
	v_exp_f32_e32 v28, v28                                     // 000000006B44: 7E38411C
	v_exp_f32_e32 v29, v29                                     // 000000006B48: 7E3A411D
	v_exp_f32_e32 v30, v30                                     // 000000006B4C: 7E3C411E
	v_exp_f32_e32 v31, v31                                     // 000000006B50: 7E3E411F
	v_mul_f32_dpp v32, v69, v16 row_newbcast:0 row_mask:0xf bank_mask:0xf// 000000006B54: 0A4020FA FF015045
	v_mul_f32_dpp v33, v69, v17 row_newbcast:1 row_mask:0xf bank_mask:0xf// 000000006B5C: 0A4222FA FF015145
	v_mul_f32_dpp v34, v69, v18 row_newbcast:2 row_mask:0xf bank_mask:0xf// 000000006B64: 0A4424FA FF015245
	v_mul_f32_dpp v35, v69, v19 row_newbcast:3 row_mask:0xf bank_mask:0xf// 000000006B6C: 0A4626FA FF015345
	v_mul_f32_dpp v36, v69, v20 row_newbcast:4 row_mask:0xf bank_mask:0xf// 000000006B74: 0A4828FA FF015445
	v_mul_f32_dpp v37, v69, v21 row_newbcast:5 row_mask:0xf bank_mask:0xf// 000000006B7C: 0A4A2AFA FF015545
	v_mul_f32_dpp v38, v69, v22 row_newbcast:6 row_mask:0xf bank_mask:0xf// 000000006B84: 0A4C2CFA FF015645
	v_mul_f32_dpp v39, v69, v23 row_newbcast:7 row_mask:0xf bank_mask:0xf// 000000006B8C: 0A4E2EFA FF015745
	v_mul_f32_dpp v40, v69, v24 row_newbcast:8 row_mask:0xf bank_mask:0xf// 000000006B94: 0A5030FA FF015845
	v_mul_f32_dpp v41, v69, v25 row_newbcast:9 row_mask:0xf bank_mask:0xf// 000000006B9C: 0A5232FA FF015945
	v_mul_f32_dpp v42, v69, v26 row_newbcast:10 row_mask:0xf bank_mask:0xf// 000000006BA4: 0A5434FA FF015A45
	v_mul_f32_dpp v43, v69, v27 row_newbcast:11 row_mask:0xf bank_mask:0xf// 000000006BAC: 0A5636FA FF015B45
	v_mul_f32_dpp v44, v69, v28 row_newbcast:12 row_mask:0xf bank_mask:0xf// 000000006BB4: 0A5838FA FF015C45
	v_mul_f32_dpp v45, v69, v29 row_newbcast:13 row_mask:0xf bank_mask:0xf// 000000006BBC: 0A5A3AFA FF015D45
	v_mul_f32_dpp v46, v69, v30 row_newbcast:14 row_mask:0xf bank_mask:0xf// 000000006BC4: 0A5C3CFA FF015E45
	v_mul_f32_dpp v47, v69, v31 row_newbcast:15 row_mask:0xf bank_mask:0xf// 000000006BCC: 0A5E3EFA FF015F45
	v_mov_b32_e32 v92, 0x358637bd                              // 000000006BD4: 7EB802FF 358637BD
	v_max3_f32 v92, |v32|, |v33|, v92                          // 000000006BDC: D1D3035C 05724320
	v_max3_f32 v92, |v34|, |v35|, v92                          // 000000006BE4: D1D3035C 05724722
	v_max3_f32 v92, |v36|, |v37|, v92                          // 000000006BEC: D1D3035C 05724B24
	v_max3_f32 v92, |v38|, |v39|, v92                          // 000000006BF4: D1D3035C 05724F26
	v_max3_f32 v92, |v40|, |v41|, v92                          // 000000006BFC: D1D3035C 05725328
	v_max3_f32 v92, |v42|, |v43|, v92                          // 000000006C04: D1D3035C 0572572A
	v_max3_f32 v92, |v44|, |v45|, v92                          // 000000006C0C: D1D3035C 05725B2C
	v_max3_f32 v92, |v46|, |v47|, v92                          // 000000006C14: D1D3035C 05725F2E
	ds_write_b32 v124, v92 offset:1280                         // 000000006C1C: D81A0500 00005C7C
	buffer_load_dword v66, v114, s[24:27], 0 offen             // 000000006C24: E0501000 80064272
	v_sub_f32_e32 v94, v96, v97                                // 000000006C2C: 04BCC360
	v_cmp_eq_u32_e64 s[86:87], v105, v96                       // 000000006C30: D0CA0056 0002C169
	s_nop 0                                                    // 000000006C38: BF800000
	v_cndmask_b32_e64 v94, v94, 0, s[86:87]                    // 000000006C3C: D100005E 0159015E
	v_mov_b32_e32 v96, v97                                     // 000000006C44: 7EC00361
	v_mul_f32_e32 v94, s58, v94                                // 000000006C48: 0ABCBC3A
	v_exp_f32_e32 v94, v94                                     // 000000006C4C: 7EBC415E
	s_nop 0                                                    // 000000006C50: BF800000
	v_mov_b32_e32 v95, v94                                     // 000000006C54: 7EBE035E
	buffer_load_dword v68, v115, s[28:31], 0 offen             // 000000006C58: E0501000 80074473
	s_waitcnt lgkmcnt(0)                                       // 000000006C60: BF8CC07F
	s_barrier                                                  // 000000006C64: BF8A0000
	v_mul_f32_e32 v98, v94, v98                                // 000000006C68: 0AC4C55E
	v_add_f32_e32 v98, v16, v98                                // 000000006C6C: 02C4C510
	v_add_f32_e32 v98, v17, v98                                // 000000006C70: 02C4C511
	v_add_f32_e32 v98, v18, v98                                // 000000006C74: 02C4C512
	v_add_f32_e32 v98, v19, v98                                // 000000006C78: 02C4C513
	v_add_f32_e32 v98, v20, v98                                // 000000006C7C: 02C4C514
	v_add_f32_e32 v98, v21, v98                                // 000000006C80: 02C4C515
	v_add_f32_e32 v98, v22, v98                                // 000000006C84: 02C4C516
	v_add_f32_e32 v98, v23, v98                                // 000000006C88: 02C4C517
	v_add_f32_e32 v98, v24, v98                                // 000000006C8C: 02C4C518
	v_add_f32_e32 v98, v25, v98                                // 000000006C90: 02C4C519
	v_add_f32_e32 v98, v26, v98                                // 000000006C94: 02C4C51A
	v_add_f32_e32 v98, v27, v98                                // 000000006C98: 02C4C51B
	v_add_f32_e32 v98, v28, v98                                // 000000006C9C: 02C4C51C
	v_add_f32_e32 v98, v29, v98                                // 000000006CA0: 02C4C51D
	v_add_f32_e32 v98, v30, v98                                // 000000006CA4: 02C4C51E
	v_add_f32_e32 v98, v31, v98                                // 000000006CA8: 02C4C51F
	buffer_load_dwordx4 a[68:71], v111, s[16:19], 0 offen      // 000000006CAC: E05C1000 8084446F
	ds_read_b32 v76, v125 offset:1280                          // 000000006CB4: D86C0500 4C00007D
	ds_read_b32 v77, v125 offset:1344                          // 000000006CBC: D86C0540 4D00007D
	ds_read_b32 v78, v125 offset:1408                          // 000000006CC4: D86C0580 4E00007D
	ds_read_b32 v79, v125 offset:1472                          // 000000006CCC: D86C05C0 4F00007D
	ds_read_b32 v80, v125 offset:1536                          // 000000006CD4: D86C0600 5000007D
	ds_read_b32 v81, v125 offset:1600                          // 000000006CDC: D86C0640 5100007D
	ds_read_b32 v82, v125 offset:1664                          // 000000006CE4: D86C0680 5200007D
	ds_read_b32 v83, v125 offset:1728                          // 000000006CEC: D86C06C0 5300007D
	ds_read_b32 v84, v125 offset:1792                          // 000000006CF4: D86C0700 5400007D
	ds_read_b32 v85, v125 offset:1856                          // 000000006CFC: D86C0740 5500007D
	ds_read_b32 v86, v125 offset:1920                          // 000000006D04: D86C0780 5600007D
	ds_read_b32 v87, v125 offset:1984                          // 000000006D0C: D86C07C0 5700007D
	ds_read_b32 v88, v125 offset:2048                          // 000000006D14: D86C0800 5800007D
	ds_read_b32 v89, v125 offset:2112                          // 000000006D1C: D86C0840 5900007D
	ds_read_b32 v90, v125 offset:2176                          // 000000006D24: D86C0880 5A00007D
	ds_read_b32 v91, v125 offset:2240                          // 000000006D2C: D86C08C0 5B00007D
	buffer_load_dwordx4 a[64:67], v110, s[16:19], 0 offen      // 000000006D34: E05C1000 8084406E
	s_waitcnt lgkmcnt(0)                                       // 000000006D3C: BF8CC07F
	v_max3_f32 v92, v76, v77, v92                              // 000000006D40: D1D3005C 05729B4C
	v_max3_f32 v92, v78, v79, v92                              // 000000006D48: D1D3005C 05729F4E
	v_max3_f32 v92, v80, v81, v92                              // 000000006D50: D1D3005C 0572A350
	v_max3_f32 v92, v82, v83, v92                              // 000000006D58: D1D3005C 0572A752
	v_max3_f32 v92, v84, v85, v92                              // 000000006D60: D1D3005C 0572AB54
	v_max3_f32 v92, v86, v87, v92                              // 000000006D68: D1D3005C 0572AF56
	v_max3_f32 v92, v88, v89, v92                              // 000000006D70: D1D3005C 0572B358
	v_max3_f32 v92, v90, v91, v92                              // 000000006D78: D1D3005C 0572B75A
	v_rcp_f32_e32 v92, v92                                     // 000000006D80: 7EB8455C
	s_nop 0                                                    // 000000006D84: BF800000
	v_mul_f32_e32 v92, 0x43700000, v92                         // 000000006D88: 0AB8B8FF 43700000
	v_mov_b32_e32 v93, v92                                     // 000000006D90: 7EBA035C
	v_pk_mul_f32 v[16:17], v[92:93], v[32:33]                  // 000000006D94: D3B14010 1802415C
	v_pk_mul_f32 v[18:19], v[92:93], v[34:35]                  // 000000006D9C: D3B14012 1802455C
	v_pk_mul_f32 v[20:21], v[92:93], v[36:37]                  // 000000006DA4: D3B14014 1802495C
	v_pk_mul_f32 v[22:23], v[92:93], v[38:39]                  // 000000006DAC: D3B14016 18024D5C
	v_pk_mul_f32 v[24:25], v[92:93], v[40:41]                  // 000000006DB4: D3B14018 1802515C
	v_pk_mul_f32 v[26:27], v[92:93], v[42:43]                  // 000000006DBC: D3B1401A 1802555C
	v_pk_mul_f32 v[28:29], v[92:93], v[44:45]                  // 000000006DC4: D3B1401C 1802595C
	v_pk_mul_f32 v[30:31], v[92:93], v[46:47]                  // 000000006DCC: D3B1401E 18025D5C
	v_cvt_pk_fp8_f32 v16, v16, v17                             // 000000006DD4: D2A20010 00022310
	v_cvt_pk_fp8_f32 v16, v18, v19 op_sel:[0,0,1]              // 000000006DDC: D2A24010 00022712
	v_cvt_pk_fp8_f32 v17, v20, v21                             // 000000006DE4: D2A20011 00022B14
	v_cvt_pk_fp8_f32 v17, v22, v23 op_sel:[0,0,1]              // 000000006DEC: D2A24011 00022F16
	v_cvt_pk_fp8_f32 v18, v24, v25                             // 000000006DF4: D2A20012 00023318
	v_cvt_pk_fp8_f32 v18, v26, v27 op_sel:[0,0,1]              // 000000006DFC: D2A24012 0002371A
	v_cvt_pk_fp8_f32 v19, v28, v29                             // 000000006E04: D2A20013 00023B1C
	v_cvt_pk_fp8_f32 v19, v30, v31 op_sel:[0,0,1]              // 000000006E0C: D2A24013 00023F1E
	ds_write_b32 v126, v16 offset:2560                         // 000000006E14: D81A0A00 0000107E
	ds_write_b32 v126, v17 offset:3584                         // 000000006E1C: D81A0E00 0000117E
	ds_write_b32 v126, v18 offset:4608                         // 000000006E24: D81A1200 0000127E
	ds_write_b32 v126, v19 offset:5632                         // 000000006E2C: D81A1600 0000137E
	v_rcp_f32_e32 v70, v92                                     // 000000006E34: 7E8C455C
	s_nop 0                                                    // 000000006E38: BF800000
	v_mov_b32_e32 v71, v70                                     // 000000006E3C: 7E8E0346
	buffer_load_dwordx4 a[72:75], v112, s[16:19], 0 offen      // 000000006E40: E05C1000 80844870
	v_pk_add_f32 v[56:57], v[56:57], v[48:49]                  // 000000006E48: D3B24038 18026138
	v_pk_add_f32 v[58:59], v[58:59], v[50:51]                  // 000000006E50: D3B2403A 1802653A
	v_pk_add_f32 v[60:61], v[60:61], v[52:53]                  // 000000006E58: D3B2403C 1802693C
	v_pk_add_f32 v[62:63], v[62:63], v[54:55]                  // 000000006E60: D3B2403E 18026D3E
	s_waitcnt lgkmcnt(0)                                       // 000000006E68: BF8CC07F
	s_barrier                                                  // 000000006E6C: BF8A0000
	ds_read_b128 v[16:19], v127 offset:2560                    // 000000006E70: D9FE0A00 1000007F
	ds_read_b128 v[20:23], v127 offset:3584                    // 000000006E78: D9FE0E00 1400007F
	ds_read_b128 v[24:27], v127 offset:4608                    // 000000006E80: D9FE1200 1800007F
	ds_read_b128 v[28:31], v127 offset:5632                    // 000000006E88: D9FE1600 1C00007F
	buffer_load_dwordx4 a[76:79], v113, s[16:19], 0 offen      // 000000006E90: E05C1000 80844C71
	s_waitcnt vmcnt(14)                                        // 000000006E98: BF8C0F7E
	s_waitcnt lgkmcnt(3)                                       // 000000006E9C: BF8CC37F
	v_mfma_f32_16x16x32_fp8_fp8 v[48:51], a[96:97], v[16:17], 0// 000000006EA0: D3F30030 0A022160
	v_mfma_f32_16x16x32_fp8_fp8 v[52:55], a[112:113], v[16:17], 0// 000000006EA8: D3F30034 0A022170
	v_mfma_f32_16x16x32_fp8_fp8 v[48:51], a[98:99], v[18:19], v[48:51]// 000000006EB0: D3F30030 0CC22562
	v_mfma_f32_16x16x32_fp8_fp8 v[52:55], a[114:115], v[18:19], v[52:55]// 000000006EB8: D3F30034 0CD22572
	buffer_load_dwordx4 a[80:83], v110, s[16:19], 0 offen offset:1024// 000000006EC0: E05C1400 8084506E
	s_waitcnt lgkmcnt(2)                                       // 000000006EC8: BF8CC27F
	v_mfma_f32_16x16x32_fp8_fp8 v[48:51], a[100:101], v[20:21], v[48:51]// 000000006ECC: D3F30030 0CC22964
	v_mfma_f32_16x16x32_fp8_fp8 v[52:55], a[116:117], v[20:21], v[52:55]// 000000006ED4: D3F30034 0CD22974
	v_mfma_f32_16x16x32_fp8_fp8 v[48:51], a[102:103], v[22:23], v[48:51]// 000000006EDC: D3F30030 0CC22D66
	v_mfma_f32_16x16x32_fp8_fp8 v[52:55], a[118:119], v[22:23], v[52:55]// 000000006EE4: D3F30034 0CD22D76
	buffer_load_dwordx4 a[84:87], v111, s[16:19], 0 offen offset:1024// 000000006EEC: E05C1400 8084546F
	s_waitcnt lgkmcnt(1)                                       // 000000006EF4: BF8CC17F
	v_mfma_f32_16x16x32_fp8_fp8 v[48:51], a[104:105], v[24:25], v[48:51]// 000000006EF8: D3F30030 0CC23168
	v_mfma_f32_16x16x32_fp8_fp8 v[52:55], a[120:121], v[24:25], v[52:55]// 000000006F00: D3F30034 0CD23178
	v_mfma_f32_16x16x32_fp8_fp8 v[48:51], a[106:107], v[26:27], v[48:51]// 000000006F08: D3F30030 0CC2356A
	v_mfma_f32_16x16x32_fp8_fp8 v[52:55], a[122:123], v[26:27], v[52:55]// 000000006F10: D3F30034 0CD2357A
	buffer_load_dwordx4 a[88:91], v112, s[16:19], 0 offen offset:1024// 000000006F18: E05C1400 80845870
	s_waitcnt lgkmcnt(0)                                       // 000000006F20: BF8CC07F
	v_mfma_f32_16x16x32_fp8_fp8 v[48:51], a[108:109], v[28:29], v[48:51]// 000000006F24: D3F30030 0CC2396C
	v_mfma_f32_16x16x32_fp8_fp8 v[52:55], a[124:125], v[28:29], v[52:55]// 000000006F2C: D3F30034 0CD2397C
	v_mfma_f32_16x16x32_fp8_fp8 v[48:51], a[110:111], v[30:31], v[48:51]// 000000006F34: D3F30030 0CC23D6E
	v_mfma_f32_16x16x32_fp8_fp8 v[52:55], a[126:127], v[30:31], v[52:55]// 000000006F3C: D3F30034 0CD23D7E
	buffer_load_dwordx4 a[92:95], v113, s[16:19], 0 offen offset:1024// 000000006F44: E05C1400 80845C71
	s_addk_i32 s56, 0x100                                      // 000000006F4C: B7380100
	s_branch label_0A64                                        // 000000006F50: BF82F84F

0000000000006f54 <label_1215>:
	s_cmp_lt_i32 s56, s75                                      // 000000006F54: BF044B38
	s_cbranch_scc0 label_1B79                                  // 000000006F58: BF840962
	s_waitcnt vmcnt(10)                                        // 000000006F5C: BF8C0F7A
	v_mfma_f32_16x16x32_fp8_fp8 v[16:19], a[0:1], v[8:9], 0    // 000000006F60: D3F30010 0A021100
	s_add_u32 s12, s78, s69                                    // 000000006F68: 800C454E
	s_addc_u32 s13, s79, 0                                     // 000000006F6C: 820D804F
	v_mfma_f32_16x16x32_fp8_fp8 v[16:19], a[2:3], v[10:11], v[16:19]// 000000006F70: D3F30010 0C421502
	buffer_load_dwordx4 a[32:35], v108, s[12:15], 0 offen      // 000000006F78: E05C1000 8083206C
	v_mfma_f32_16x16x32_fp8_fp8 v[16:19], a[4:5], v[12:13], v[16:19]// 000000006F80: D3F30010 0C421904
	s_add_u32 s16, s80, s70                                    // 000000006F88: 80104650
	s_addc_u32 s17, s81, 0                                     // 000000006F8C: 82118051
	v_mfma_f32_16x16x32_fp8_fp8 v[16:19], a[6:7], v[14:15], v[16:19]// 000000006F90: D3F30010 0C421D06
	s_add_u32 s24, s82, s71                                    // 000000006F98: 80184752
	s_addc_u32 s25, s83, 0                                     // 000000006F9C: 82198053
	v_mfma_f32_16x16x32_fp8_fp8 v[20:23], a[8:9], v[8:9], 0    // 000000006FA0: D3F30014 0A021108
	s_add_u32 s28, s84, s71                                    // 000000006FA8: 801C4754
	s_addc_u32 s29, s85, 0                                     // 000000006FAC: 821D8055
	v_mfma_f32_16x16x32_fp8_fp8 v[20:23], a[10:11], v[10:11], v[20:23]// 000000006FB0: D3F30014 0C52150A
	buffer_load_dwordx4 a[36:39], v109, s[12:15], 0 offen      // 000000006FB8: E05C1000 8083246D
	v_mfma_f32_16x16x32_fp8_fp8 v[20:23], a[12:13], v[12:13], v[20:23]// 000000006FC0: D3F30014 0C52190C
	s_add_u32 s69, s69, 0x1000                                 // 000000006FC8: 8045FF45 00001000
	s_add_u32 s70, s70, 0x8000                                 // 000000006FD0: 8046FF46 00008000
	v_mfma_f32_16x16x32_fp8_fp8 v[20:23], a[14:15], v[14:15], v[20:23]// 000000006FD8: D3F30014 0C521D0E
	s_add_u32 s71, s71, 0x400                                  // 000000006FE0: 8047FF47 00000400
	v_mfma_f32_16x16x32_fp8_fp8 v[24:27], a[16:17], v[8:9], 0  // 000000006FE8: D3F30018 0A021110
	v_mfma_f32_16x16x32_fp8_fp8 v[24:27], a[18:19], v[10:11], v[24:27]// 000000006FF0: D3F30018 0C621512
	buffer_load_dwordx4 a[40:43], v108, s[12:15], 0 offen offset:1024// 000000006FF8: E05C1400 8083286C
	v_mfma_f32_16x16x32_fp8_fp8 v[24:27], a[20:21], v[12:13], v[24:27]// 000000007000: D3F30018 0C621914
	v_mfma_f32_16x16x32_fp8_fp8 v[24:27], a[22:23], v[14:15], v[24:27]// 000000007008: D3F30018 0C621D16
	v_mfma_f32_16x16x32_fp8_fp8 v[28:31], a[24:25], v[8:9], 0  // 000000007010: D3F3001C 0A021118
	v_mfma_f32_16x16x32_fp8_fp8 v[28:31], a[26:27], v[10:11], v[28:31]// 000000007018: D3F3001C 0C72151A
	buffer_load_dwordx4 a[44:47], v109, s[12:15], 0 offen offset:1024// 000000007020: E05C1400 80832C6D
	v_mfma_f32_16x16x32_fp8_fp8 v[28:31], a[28:29], v[12:13], v[28:31]// 000000007028: D3F3001C 0C72191C
	v_mfma_f32_16x16x32_fp8_fp8 v[28:31], a[30:31], v[14:15], v[28:31]// 000000007030: D3F3001C 0C721D1E
	s_waitcnt vmcnt(12)                                        // 000000007038: BF8C0F7C
	v_pk_mul_f32 v[16:17], v[64:65], v[16:17]                  // 00000000703C: D3B14010 18022140
	v_pk_mul_f32 v[18:19], v[64:65], v[18:19]                  // 000000007044: D3B14012 18022540
	v_mul_f32_dpp v16, v66, v16 row_newbcast:0 row_mask:0xf bank_mask:0xf// 00000000704C: 0A2020FA FF015042
	v_mul_f32_dpp v17, v66, v17 row_newbcast:1 row_mask:0xf bank_mask:0xf// 000000007054: 0A2222FA FF015142
	v_mul_f32_dpp v18, v66, v18 row_newbcast:2 row_mask:0xf bank_mask:0xf// 00000000705C: 0A2424FA FF015242
	v_mul_f32_dpp v19, v66, v19 row_newbcast:3 row_mask:0xf bank_mask:0xf// 000000007064: 0A2626FA FF015342
	v_pk_mul_f32 v[20:21], v[64:65], v[20:21]                  // 00000000706C: D3B14014 18022940
	v_pk_mul_f32 v[22:23], v[64:65], v[22:23]                  // 000000007074: D3B14016 18022D40
	v_mul_f32_dpp v20, v66, v20 row_newbcast:4 row_mask:0xf bank_mask:0xf// 00000000707C: 0A2828FA FF015442
	v_mul_f32_dpp v21, v66, v21 row_newbcast:5 row_mask:0xf bank_mask:0xf// 000000007084: 0A2A2AFA FF015542
	v_mul_f32_dpp v22, v66, v22 row_newbcast:6 row_mask:0xf bank_mask:0xf// 00000000708C: 0A2C2CFA FF015642
	v_mul_f32_dpp v23, v66, v23 row_newbcast:7 row_mask:0xf bank_mask:0xf// 000000007094: 0A2E2EFA FF015742
	v_pk_mul_f32 v[24:25], v[64:65], v[24:25]                  // 00000000709C: D3B14018 18023140
	v_pk_mul_f32 v[26:27], v[64:65], v[26:27]                  // 0000000070A4: D3B1401A 18023540
	v_mul_f32_dpp v24, v66, v24 row_newbcast:8 row_mask:0xf bank_mask:0xf// 0000000070AC: 0A3030FA FF015842
	v_mul_f32_dpp v25, v66, v25 row_newbcast:9 row_mask:0xf bank_mask:0xf// 0000000070B4: 0A3232FA FF015942
	v_mul_f32_dpp v26, v66, v26 row_newbcast:10 row_mask:0xf bank_mask:0xf// 0000000070BC: 0A3434FA FF015A42
	v_mul_f32_dpp v27, v66, v27 row_newbcast:11 row_mask:0xf bank_mask:0xf// 0000000070C4: 0A3636FA FF015B42
	v_pk_mul_f32 v[28:29], v[64:65], v[28:29]                  // 0000000070CC: D3B1401C 18023940
	v_pk_mul_f32 v[30:31], v[64:65], v[30:31]                  // 0000000070D4: D3B1401E 18023D40
	v_mul_f32_dpp v28, v66, v28 row_newbcast:12 row_mask:0xf bank_mask:0xf// 0000000070DC: 0A3838FA FF015C42
	v_mul_f32_dpp v29, v66, v29 row_newbcast:13 row_mask:0xf bank_mask:0xf// 0000000070E4: 0A3A3AFA FF015D42
	v_mul_f32_dpp v30, v66, v30 row_newbcast:14 row_mask:0xf bank_mask:0xf// 0000000070EC: 0A3C3CFA FF015E42
	v_mul_f32_dpp v31, v66, v31 row_newbcast:15 row_mask:0xf bank_mask:0xf// 0000000070F4: 0A3E3EFA FF015F42
	buffer_load_dwordx4 a[48:51], v108, s[12:15], 0 offen offset:2048// 0000000070FC: E05C1800 8083306C
	v_add_u32_e32 v72, s56, v104                               // 000000007104: 6890D038
	v_add_u32_e32 v73, 0, v72                                  // 000000007108: 68929080
	v_cmp_lt_u32_e64 s[86:87], v73, v103                       // 00000000710C: D0C90056 0002CF49
	s_nop 0                                                    // 000000007114: BF800000
	v_cndmask_b32_e64 v16, v105, v16, s[86:87]                 // 000000007118: D1000010 015A2169
	v_add_u32_e32 v73, 1, v72                                  // 000000007120: 68929081
	v_cmp_lt_u32_e64 s[86:87], v73, v103                       // 000000007124: D0C90056 0002CF49
	s_nop 0                                                    // 00000000712C: BF800000
	v_cndmask_b32_e64 v17, v105, v17, s[86:87]                 // 000000007130: D1000011 015A2369
	v_add_u32_e32 v73, 2, v72                                  // 000000007138: 68929082
	v_cmp_lt_u32_e64 s[86:87], v73, v103                       // 00000000713C: D0C90056 0002CF49
	s_nop 0                                                    // 000000007144: BF800000
	v_cndmask_b32_e64 v18, v105, v18, s[86:87]                 // 000000007148: D1000012 015A2569
	v_add_u32_e32 v73, 3, v72                                  // 000000007150: 68929083
	v_cmp_lt_u32_e64 s[86:87], v73, v103                       // 000000007154: D0C90056 0002CF49
	s_nop 0                                                    // 00000000715C: BF800000
	v_cndmask_b32_e64 v19, v105, v19, s[86:87]                 // 000000007160: D1000013 015A2769
	v_add_u32_e32 v73, 64, v72                                 // 000000007168: 689290C0
	v_cmp_lt_u32_e64 s[86:87], v73, v103                       // 00000000716C: D0C90056 0002CF49
	s_nop 0                                                    // 000000007174: BF800000
	v_cndmask_b32_e64 v20, v105, v20, s[86:87]                 // 000000007178: D1000014 015A2969
	v_add_u32_e32 v73, 0x41, v72                               // 000000007180: 689290FF 00000041
	v_cmp_lt_u32_e64 s[86:87], v73, v103                       // 000000007188: D0C90056 0002CF49
	s_nop 0                                                    // 000000007190: BF800000
	v_cndmask_b32_e64 v21, v105, v21, s[86:87]                 // 000000007194: D1000015 015A2B69
	v_add_u32_e32 v73, 0x42, v72                               // 00000000719C: 689290FF 00000042
	v_cmp_lt_u32_e64 s[86:87], v73, v103                       // 0000000071A4: D0C90056 0002CF49
	s_nop 0                                                    // 0000000071AC: BF800000
	v_cndmask_b32_e64 v22, v105, v22, s[86:87]                 // 0000000071B0: D1000016 015A2D69
	v_add_u32_e32 v73, 0x43, v72                               // 0000000071B8: 689290FF 00000043
	v_cmp_lt_u32_e64 s[86:87], v73, v103                       // 0000000071C0: D0C90056 0002CF49
	s_nop 0                                                    // 0000000071C8: BF800000
	v_cndmask_b32_e64 v23, v105, v23, s[86:87]                 // 0000000071CC: D1000017 015A2F69
	v_add_u32_e32 v73, 0x80, v72                               // 0000000071D4: 689290FF 00000080
	v_cmp_lt_u32_e64 s[86:87], v73, v103                       // 0000000071DC: D0C90056 0002CF49
	s_nop 0                                                    // 0000000071E4: BF800000
	v_cndmask_b32_e64 v24, v105, v24, s[86:87]                 // 0000000071E8: D1000018 015A3169
	v_add_u32_e32 v73, 0x81, v72                               // 0000000071F0: 689290FF 00000081
	v_cmp_lt_u32_e64 s[86:87], v73, v103                       // 0000000071F8: D0C90056 0002CF49
	s_nop 0                                                    // 000000007200: BF800000
	v_cndmask_b32_e64 v25, v105, v25, s[86:87]                 // 000000007204: D1000019 015A3369
	v_add_u32_e32 v73, 0x82, v72                               // 00000000720C: 689290FF 00000082
	v_cmp_lt_u32_e64 s[86:87], v73, v103                       // 000000007214: D0C90056 0002CF49
	s_nop 0                                                    // 00000000721C: BF800000
	v_cndmask_b32_e64 v26, v105, v26, s[86:87]                 // 000000007220: D100001A 015A3569
	v_add_u32_e32 v73, 0x83, v72                               // 000000007228: 689290FF 00000083
	v_cmp_lt_u32_e64 s[86:87], v73, v103                       // 000000007230: D0C90056 0002CF49
	s_nop 0                                                    // 000000007238: BF800000
	v_cndmask_b32_e64 v27, v105, v27, s[86:87]                 // 00000000723C: D100001B 015A3769
	v_add_u32_e32 v73, 0xc0, v72                               // 000000007244: 689290FF 000000C0
	v_cmp_lt_u32_e64 s[86:87], v73, v103                       // 00000000724C: D0C90056 0002CF49
	s_nop 0                                                    // 000000007254: BF800000
	v_cndmask_b32_e64 v28, v105, v28, s[86:87]                 // 000000007258: D100001C 015A3969
	v_add_u32_e32 v73, 0xc1, v72                               // 000000007260: 689290FF 000000C1
	v_cmp_lt_u32_e64 s[86:87], v73, v103                       // 000000007268: D0C90056 0002CF49
	s_nop 0                                                    // 000000007270: BF800000
	v_cndmask_b32_e64 v29, v105, v29, s[86:87]                 // 000000007274: D100001D 015A3B69
	v_add_u32_e32 v73, 0xc2, v72                               // 00000000727C: 689290FF 000000C2
	v_cmp_lt_u32_e64 s[86:87], v73, v103                       // 000000007284: D0C90056 0002CF49
	s_nop 0                                                    // 00000000728C: BF800000
	v_cndmask_b32_e64 v30, v105, v30, s[86:87]                 // 000000007290: D100001E 015A3D69
	v_add_u32_e32 v73, 0xc3, v72                               // 000000007298: 689290FF 000000C3
	v_cmp_lt_u32_e64 s[86:87], v73, v103                       // 0000000072A0: D0C90056 0002CF49
	s_nop 0                                                    // 0000000072A8: BF800000
	v_cndmask_b32_e64 v31, v105, v31, s[86:87]                 // 0000000072AC: D100001F 015A3F69
	v_mov_b32_e32 v92, v16                                     // 0000000072B4: 7EB80310
	v_max3_f32 v92, v16, v17, v92                              // 0000000072B8: D1D3005C 05722310
	v_max3_f32 v92, v18, v19, v92                              // 0000000072C0: D1D3005C 05722712
	v_max3_f32 v92, v20, v21, v92                              // 0000000072C8: D1D3005C 05722B14
	v_max3_f32 v92, v22, v23, v92                              // 0000000072D0: D1D3005C 05722F16
	v_max3_f32 v92, v24, v25, v92                              // 0000000072D8: D1D3005C 05723318
	v_max3_f32 v92, v26, v27, v92                              // 0000000072E0: D1D3005C 0572371A
	v_max3_f32 v92, v28, v29, v92                              // 0000000072E8: D1D3005C 05723B1C
	v_max3_f32 v92, v30, v31, v92                              // 0000000072F0: D1D3005C 05723F1E
	ds_write_b32 v124, v92                                     // 0000000072F8: D81A0000 00005C7C
	v_pk_mul_f32 v[56:57], v[94:95], v[56:57]                  // 000000007300: D3B14038 1802715E
	v_pk_mul_f32 v[58:59], v[94:95], v[58:59]                  // 000000007308: D3B1403A 1802755E
	v_pk_mul_f32 v[60:61], v[94:95], v[60:61]                  // 000000007310: D3B1403C 1802795E
	v_pk_mul_f32 v[62:63], v[94:95], v[62:63]                  // 000000007318: D3B1403E 18027D5E
	buffer_load_dwordx4 a[52:55], v109, s[12:15], 0 offen offset:2048// 000000007320: E05C1800 8083346D
	s_waitcnt lgkmcnt(0)                                       // 000000007328: BF8CC07F
	s_barrier                                                  // 00000000732C: BF8A0000
	ds_read_b32 v76, v125                                      // 000000007330: D86C0000 4C00007D
	ds_read_b32 v77, v125 offset:64                            // 000000007338: D86C0040 4D00007D
	ds_read_b32 v78, v125 offset:128                           // 000000007340: D86C0080 4E00007D
	ds_read_b32 v79, v125 offset:192                           // 000000007348: D86C00C0 4F00007D
	ds_read_b32 v80, v125 offset:256                           // 000000007350: D86C0100 5000007D
	ds_read_b32 v81, v125 offset:320                           // 000000007358: D86C0140 5100007D
	ds_read_b32 v82, v125 offset:384                           // 000000007360: D86C0180 5200007D
	ds_read_b32 v83, v125 offset:448                           // 000000007368: D86C01C0 5300007D
	ds_read_b32 v84, v125 offset:512                           // 000000007370: D86C0200 5400007D
	ds_read_b32 v85, v125 offset:576                           // 000000007378: D86C0240 5500007D
	ds_read_b32 v86, v125 offset:640                           // 000000007380: D86C0280 5600007D
	ds_read_b32 v87, v125 offset:704                           // 000000007388: D86C02C0 5700007D
	ds_read_b32 v88, v125 offset:768                           // 000000007390: D86C0300 5800007D
	ds_read_b32 v89, v125 offset:832                           // 000000007398: D86C0340 5900007D
	ds_read_b32 v90, v125 offset:896                           // 0000000073A0: D86C0380 5A00007D
	ds_read_b32 v91, v125 offset:960                           // 0000000073A8: D86C03C0 5B00007D
	buffer_load_dwordx4 a[60:63], v109, s[12:15], 0 offen offset:3072// 0000000073B0: E05C1C00 80833C6D
	v_pk_mul_f32 v[48:49], v[70:71], v[48:49]                  // 0000000073B8: D3B14030 18026146
	v_pk_mul_f32 v[50:51], v[70:71], v[50:51]                  // 0000000073C0: D3B14032 18026546
	v_pk_mul_f32 v[52:53], v[70:71], v[52:53]                  // 0000000073C8: D3B14034 18026946
	v_pk_mul_f32 v[54:55], v[70:71], v[54:55]                  // 0000000073D0: D3B14036 18026D46
	buffer_load_dwordx4 a[56:59], v108, s[12:15], 0 offen offset:3072// 0000000073D8: E05C1C00 8083386C
	s_waitcnt lgkmcnt(0)                                       // 0000000073E0: BF8CC07F
	v_max3_f32 v92, v76, v77, v92                              // 0000000073E4: D1D3005C 05729B4C
	v_max3_f32 v92, v78, v79, v92                              // 0000000073EC: D1D3005C 05729F4E
	v_max3_f32 v92, v80, v81, v92                              // 0000000073F4: D1D3005C 0572A350
	v_max3_f32 v92, v82, v83, v92                              // 0000000073FC: D1D3005C 0572A752
	v_max3_f32 v92, v84, v85, v92                              // 000000007404: D1D3005C 0572AB54
	v_max3_f32 v92, v86, v87, v92                              // 00000000740C: D1D3005C 0572AF56
	v_max3_f32 v92, v88, v89, v92                              // 000000007414: D1D3005C 0572B358
	v_max3_f32 v92, v90, v91, v92                              // 00000000741C: D1D3005C 0572B75A
	v_max_f32_e32 v97, v92, v96                                // 000000007424: 16C2C15C
	v_mul_f32_e64 v72, -s58, v97                               // 000000007428: D1050048 2002C23A
	v_mov_b32_e32 v73, v72                                     // 000000007430: 7E920348
	v_pk_fma_f32 v[16:17], v[16:17], s[88:89], v[72:73]        // 000000007434: D3B04010 1D20B110
	v_pk_fma_f32 v[18:19], v[18:19], s[88:89], v[72:73]        // 00000000743C: D3B04012 1D20B112
	v_exp_f32_e32 v16, v16                                     // 000000007444: 7E204110
	v_exp_f32_e32 v17, v17                                     // 000000007448: 7E224111
	v_exp_f32_e32 v18, v18                                     // 00000000744C: 7E244112
	v_exp_f32_e32 v19, v19                                     // 000000007450: 7E264113
	v_pk_fma_f32 v[20:21], v[20:21], s[88:89], v[72:73]        // 000000007454: D3B04014 1D20B114
	v_pk_fma_f32 v[22:23], v[22:23], s[88:89], v[72:73]        // 00000000745C: D3B04016 1D20B116
	v_exp_f32_e32 v20, v20                                     // 000000007464: 7E284114
	v_exp_f32_e32 v21, v21                                     // 000000007468: 7E2A4115
	v_exp_f32_e32 v22, v22                                     // 00000000746C: 7E2C4116
	v_exp_f32_e32 v23, v23                                     // 000000007470: 7E2E4117
	v_pk_fma_f32 v[24:25], v[24:25], s[88:89], v[72:73]        // 000000007474: D3B04018 1D20B118
	v_pk_fma_f32 v[26:27], v[26:27], s[88:89], v[72:73]        // 00000000747C: D3B0401A 1D20B11A
	v_exp_f32_e32 v24, v24                                     // 000000007484: 7E304118
	v_exp_f32_e32 v25, v25                                     // 000000007488: 7E324119
	v_exp_f32_e32 v26, v26                                     // 00000000748C: 7E34411A
	v_exp_f32_e32 v27, v27                                     // 000000007490: 7E36411B
	v_pk_fma_f32 v[28:29], v[28:29], s[88:89], v[72:73]        // 000000007494: D3B0401C 1D20B11C
	v_pk_fma_f32 v[30:31], v[30:31], s[88:89], v[72:73]        // 00000000749C: D3B0401E 1D20B11E
	v_exp_f32_e32 v28, v28                                     // 0000000074A4: 7E38411C
	v_exp_f32_e32 v29, v29                                     // 0000000074A8: 7E3A411D
	v_exp_f32_e32 v30, v30                                     // 0000000074AC: 7E3C411E
	v_exp_f32_e32 v31, v31                                     // 0000000074B0: 7E3E411F
	v_mul_f32_dpp v32, v68, v16 row_newbcast:0 row_mask:0xf bank_mask:0xf// 0000000074B4: 0A4020FA FF015044
	v_mul_f32_dpp v33, v68, v17 row_newbcast:1 row_mask:0xf bank_mask:0xf// 0000000074BC: 0A4222FA FF015144
	v_mul_f32_dpp v34, v68, v18 row_newbcast:2 row_mask:0xf bank_mask:0xf// 0000000074C4: 0A4424FA FF015244
	v_mul_f32_dpp v35, v68, v19 row_newbcast:3 row_mask:0xf bank_mask:0xf// 0000000074CC: 0A4626FA FF015344
	v_mul_f32_dpp v36, v68, v20 row_newbcast:4 row_mask:0xf bank_mask:0xf// 0000000074D4: 0A4828FA FF015444
	v_mul_f32_dpp v37, v68, v21 row_newbcast:5 row_mask:0xf bank_mask:0xf// 0000000074DC: 0A4A2AFA FF015544
	v_mul_f32_dpp v38, v68, v22 row_newbcast:6 row_mask:0xf bank_mask:0xf// 0000000074E4: 0A4C2CFA FF015644
	v_mul_f32_dpp v39, v68, v23 row_newbcast:7 row_mask:0xf bank_mask:0xf// 0000000074EC: 0A4E2EFA FF015744
	v_mul_f32_dpp v40, v68, v24 row_newbcast:8 row_mask:0xf bank_mask:0xf// 0000000074F4: 0A5030FA FF015844
	v_mul_f32_dpp v41, v68, v25 row_newbcast:9 row_mask:0xf bank_mask:0xf// 0000000074FC: 0A5232FA FF015944
	v_mul_f32_dpp v42, v68, v26 row_newbcast:10 row_mask:0xf bank_mask:0xf// 000000007504: 0A5434FA FF015A44
	v_mul_f32_dpp v43, v68, v27 row_newbcast:11 row_mask:0xf bank_mask:0xf// 00000000750C: 0A5636FA FF015B44
	v_mul_f32_dpp v44, v68, v28 row_newbcast:12 row_mask:0xf bank_mask:0xf// 000000007514: 0A5838FA FF015C44
	v_mul_f32_dpp v45, v68, v29 row_newbcast:13 row_mask:0xf bank_mask:0xf// 00000000751C: 0A5A3AFA FF015D44
	v_mul_f32_dpp v46, v68, v30 row_newbcast:14 row_mask:0xf bank_mask:0xf// 000000007524: 0A5C3CFA FF015E44
	v_mul_f32_dpp v47, v68, v31 row_newbcast:15 row_mask:0xf bank_mask:0xf// 00000000752C: 0A5E3EFA FF015F44
	v_mov_b32_e32 v92, 0x358637bd                              // 000000007534: 7EB802FF 358637BD
	v_max3_f32 v92, |v32|, |v33|, v92                          // 00000000753C: D1D3035C 05724320
	v_max3_f32 v92, |v34|, |v35|, v92                          // 000000007544: D1D3035C 05724722
	v_max3_f32 v92, |v36|, |v37|, v92                          // 00000000754C: D1D3035C 05724B24
	v_max3_f32 v92, |v38|, |v39|, v92                          // 000000007554: D1D3035C 05724F26
	v_max3_f32 v92, |v40|, |v41|, v92                          // 00000000755C: D1D3035C 05725328
	v_max3_f32 v92, |v42|, |v43|, v92                          // 000000007564: D1D3035C 0572572A
	v_max3_f32 v92, |v44|, |v45|, v92                          // 00000000756C: D1D3035C 05725B2C
	v_max3_f32 v92, |v46|, |v47|, v92                          // 000000007574: D1D3035C 05725F2E
	ds_write_b32 v124, v92 offset:1280                         // 00000000757C: D81A0500 00005C7C
	buffer_load_dword v67, v114, s[24:27], 0 offen             // 000000007584: E0501000 80064372
	v_sub_f32_e32 v94, v96, v97                                // 00000000758C: 04BCC360
	v_cmp_eq_u32_e64 s[86:87], v105, v96                       // 000000007590: D0CA0056 0002C169
	s_nop 0                                                    // 000000007598: BF800000
	v_cndmask_b32_e64 v94, v94, 0, s[86:87]                    // 00000000759C: D100005E 0159015E
	v_mov_b32_e32 v96, v97                                     // 0000000075A4: 7EC00361
	v_mul_f32_e32 v94, s58, v94                                // 0000000075A8: 0ABCBC3A
	v_exp_f32_e32 v94, v94                                     // 0000000075AC: 7EBC415E
	s_nop 0                                                    // 0000000075B0: BF800000
	v_mov_b32_e32 v95, v94                                     // 0000000075B4: 7EBE035E
	buffer_load_dword v69, v115, s[28:31], 0 offen             // 0000000075B8: E0501000 80074573
	s_waitcnt lgkmcnt(0)                                       // 0000000075C0: BF8CC07F
	s_barrier                                                  // 0000000075C4: BF8A0000
	ds_read_b32 v76, v125 offset:1280                          // 0000000075C8: D86C0500 4C00007D
	ds_read_b32 v77, v125 offset:1344                          // 0000000075D0: D86C0540 4D00007D
	ds_read_b32 v78, v125 offset:1408                          // 0000000075D8: D86C0580 4E00007D
	ds_read_b32 v79, v125 offset:1472                          // 0000000075E0: D86C05C0 4F00007D
	ds_read_b32 v80, v125 offset:1536                          // 0000000075E8: D86C0600 5000007D
	ds_read_b32 v81, v125 offset:1600                          // 0000000075F0: D86C0640 5100007D
	ds_read_b32 v82, v125 offset:1664                          // 0000000075F8: D86C0680 5200007D
	ds_read_b32 v83, v125 offset:1728                          // 000000007600: D86C06C0 5300007D
	ds_read_b32 v84, v125 offset:1792                          // 000000007608: D86C0700 5400007D
	ds_read_b32 v85, v125 offset:1856                          // 000000007610: D86C0740 5500007D
	ds_read_b32 v86, v125 offset:1920                          // 000000007618: D86C0780 5600007D
	ds_read_b32 v87, v125 offset:1984                          // 000000007620: D86C07C0 5700007D
	ds_read_b32 v88, v125 offset:2048                          // 000000007628: D86C0800 5800007D
	ds_read_b32 v89, v125 offset:2112                          // 000000007630: D86C0840 5900007D
	ds_read_b32 v90, v125 offset:2176                          // 000000007638: D86C0880 5A00007D
	ds_read_b32 v91, v125 offset:2240                          // 000000007640: D86C08C0 5B00007D
	buffer_load_dwordx4 a[96:99], v110, s[16:19], 0 offen      // 000000007648: E05C1000 8084606E
	v_mul_f32_e32 v98, v94, v98                                // 000000007650: 0AC4C55E
	v_add_f32_e32 v98, v16, v98                                // 000000007654: 02C4C510
	v_add_f32_e32 v98, v17, v98                                // 000000007658: 02C4C511
	v_add_f32_e32 v98, v18, v98                                // 00000000765C: 02C4C512
	v_add_f32_e32 v98, v19, v98                                // 000000007660: 02C4C513
	v_add_f32_e32 v98, v20, v98                                // 000000007664: 02C4C514
	v_add_f32_e32 v98, v21, v98                                // 000000007668: 02C4C515
	v_add_f32_e32 v98, v22, v98                                // 00000000766C: 02C4C516
	v_add_f32_e32 v98, v23, v98                                // 000000007670: 02C4C517
	v_add_f32_e32 v98, v24, v98                                // 000000007674: 02C4C518
	v_add_f32_e32 v98, v25, v98                                // 000000007678: 02C4C519
	v_add_f32_e32 v98, v26, v98                                // 00000000767C: 02C4C51A
	v_add_f32_e32 v98, v27, v98                                // 000000007680: 02C4C51B
	v_add_f32_e32 v98, v28, v98                                // 000000007684: 02C4C51C
	v_add_f32_e32 v98, v29, v98                                // 000000007688: 02C4C51D
	v_add_f32_e32 v98, v30, v98                                // 00000000768C: 02C4C51E
	v_add_f32_e32 v98, v31, v98                                // 000000007690: 02C4C51F
	buffer_load_dwordx4 a[100:103], v111, s[16:19], 0 offen    // 000000007694: E05C1000 8084646F
	s_waitcnt lgkmcnt(0)                                       // 00000000769C: BF8CC07F
	v_max3_f32 v92, v76, v77, v92                              // 0000000076A0: D1D3005C 05729B4C
	v_max3_f32 v92, v78, v79, v92                              // 0000000076A8: D1D3005C 05729F4E
	v_max3_f32 v92, v80, v81, v92                              // 0000000076B0: D1D3005C 0572A350
	v_max3_f32 v92, v82, v83, v92                              // 0000000076B8: D1D3005C 0572A752
	v_max3_f32 v92, v84, v85, v92                              // 0000000076C0: D1D3005C 0572AB54
	v_max3_f32 v92, v86, v87, v92                              // 0000000076C8: D1D3005C 0572AF56
	v_max3_f32 v92, v88, v89, v92                              // 0000000076D0: D1D3005C 0572B358
	v_max3_f32 v92, v90, v91, v92                              // 0000000076D8: D1D3005C 0572B75A
	v_rcp_f32_e32 v92, v92                                     // 0000000076E0: 7EB8455C
	s_nop 0                                                    // 0000000076E4: BF800000
	v_mul_f32_e32 v92, 0x43700000, v92                         // 0000000076E8: 0AB8B8FF 43700000
	v_mov_b32_e32 v93, v92                                     // 0000000076F0: 7EBA035C
	v_pk_mul_f32 v[16:17], v[92:93], v[32:33]                  // 0000000076F4: D3B14010 1802415C
	v_pk_mul_f32 v[18:19], v[92:93], v[34:35]                  // 0000000076FC: D3B14012 1802455C
	v_pk_mul_f32 v[20:21], v[92:93], v[36:37]                  // 000000007704: D3B14014 1802495C
	v_pk_mul_f32 v[22:23], v[92:93], v[38:39]                  // 00000000770C: D3B14016 18024D5C
	v_pk_mul_f32 v[24:25], v[92:93], v[40:41]                  // 000000007714: D3B14018 1802515C
	v_pk_mul_f32 v[26:27], v[92:93], v[42:43]                  // 00000000771C: D3B1401A 1802555C
	v_pk_mul_f32 v[28:29], v[92:93], v[44:45]                  // 000000007724: D3B1401C 1802595C
	v_pk_mul_f32 v[30:31], v[92:93], v[46:47]                  // 00000000772C: D3B1401E 18025D5C
	v_cvt_pk_fp8_f32 v16, v16, v17                             // 000000007734: D2A20010 00022310
	v_cvt_pk_fp8_f32 v16, v18, v19 op_sel:[0,0,1]              // 00000000773C: D2A24010 00022712
	v_cvt_pk_fp8_f32 v17, v20, v21                             // 000000007744: D2A20011 00022B14
	v_cvt_pk_fp8_f32 v17, v22, v23 op_sel:[0,0,1]              // 00000000774C: D2A24011 00022F16
	v_cvt_pk_fp8_f32 v18, v24, v25                             // 000000007754: D2A20012 00023318
	v_cvt_pk_fp8_f32 v18, v26, v27 op_sel:[0,0,1]              // 00000000775C: D2A24012 0002371A
	v_cvt_pk_fp8_f32 v19, v28, v29                             // 000000007764: D2A20013 00023B1C
	v_cvt_pk_fp8_f32 v19, v30, v31 op_sel:[0,0,1]              // 00000000776C: D2A24013 00023F1E
	ds_write_b32 v126, v16 offset:2560                         // 000000007774: D81A0A00 0000107E
	ds_write_b32 v126, v17 offset:3584                         // 00000000777C: D81A0E00 0000117E
	ds_write_b32 v126, v18 offset:4608                         // 000000007784: D81A1200 0000127E
	ds_write_b32 v126, v19 offset:5632                         // 00000000778C: D81A1600 0000137E
	v_rcp_f32_e32 v70, v92                                     // 000000007794: 7E8C455C
	s_nop 0                                                    // 000000007798: BF800000
	v_mov_b32_e32 v71, v70                                     // 00000000779C: 7E8E0346
	buffer_load_dwordx4 a[104:107], v112, s[16:19], 0 offen    // 0000000077A0: E05C1000 80846870
	v_pk_add_f32 v[56:57], v[56:57], v[48:49]                  // 0000000077A8: D3B24038 18026138
	v_pk_add_f32 v[58:59], v[58:59], v[50:51]                  // 0000000077B0: D3B2403A 1802653A
	v_pk_add_f32 v[60:61], v[60:61], v[52:53]                  // 0000000077B8: D3B2403C 1802693C
	v_pk_add_f32 v[62:63], v[62:63], v[54:55]                  // 0000000077C0: D3B2403E 18026D3E
	s_waitcnt lgkmcnt(0)                                       // 0000000077C8: BF8CC07F
	s_barrier                                                  // 0000000077CC: BF8A0000
	ds_read_b128 v[16:19], v127 offset:2560                    // 0000000077D0: D9FE0A00 1000007F
	ds_read_b128 v[20:23], v127 offset:3584                    // 0000000077D8: D9FE0E00 1400007F
	ds_read_b128 v[24:27], v127 offset:4608                    // 0000000077E0: D9FE1200 1800007F
	ds_read_b128 v[28:31], v127 offset:5632                    // 0000000077E8: D9FE1600 1C00007F
	buffer_load_dwordx4 a[108:111], v113, s[16:19], 0 offen    // 0000000077F0: E05C1000 80846C71
	s_waitcnt vmcnt(14)                                        // 0000000077F8: BF8C0F7E
	s_waitcnt lgkmcnt(3)                                       // 0000000077FC: BF8CC37F
	v_mfma_f32_16x16x32_fp8_fp8 v[48:51], a[64:65], v[16:17], 0// 000000007800: D3F30030 0A022140
	s_addk_i32 s67, 0x1                                        // 000000007808: B7430001
	v_mfma_f32_16x16x32_fp8_fp8 v[52:55], a[80:81], v[16:17], 0// 00000000780C: D3F30034 0A022150
	s_cmp_lt_u32 s67, s97                                      // 000000007814: BF0A6143
	s_cselect_b32 s68, 4, 0                                    // 000000007818: 85448084
	v_mfma_f32_16x16x32_fp8_fp8 v[48:51], a[66:67], v[18:19], v[48:51]// 00000000781C: D3F30030 0CC22542
	s_add_u32 s20, s20, s68                                    // 000000007824: 80144414
	s_addc_u32 s21, s21, 0                                     // 000000007828: 82158015
	v_mfma_f32_16x16x32_fp8_fp8 v[52:55], a[82:83], v[18:19], v[52:55]// 00000000782C: D3F30034 0CD22552
	buffer_load_dwordx4 a[112:115], v110, s[16:19], 0 offen offset:1024// 000000007834: E05C1400 8084706E
	s_waitcnt lgkmcnt(2)                                       // 00000000783C: BF8CC27F
	v_mfma_f32_16x16x32_fp8_fp8 v[48:51], a[68:69], v[20:21], v[48:51]// 000000007840: D3F30030 0CC22944
	v_mfma_f32_16x16x32_fp8_fp8 v[52:55], a[84:85], v[20:21], v[52:55]// 000000007848: D3F30034 0CD22954
	v_mfma_f32_16x16x32_fp8_fp8 v[48:51], a[70:71], v[22:23], v[48:51]// 000000007850: D3F30030 0CC22D46
	v_mfma_f32_16x16x32_fp8_fp8 v[52:55], a[86:87], v[22:23], v[52:55]// 000000007858: D3F30034 0CD22D56
	buffer_load_dwordx4 a[116:119], v111, s[16:19], 0 offen offset:1024// 000000007860: E05C1400 8084746F
	s_waitcnt lgkmcnt(1)                                       // 000000007868: BF8CC17F
	v_mfma_f32_16x16x32_fp8_fp8 v[48:51], a[72:73], v[24:25], v[48:51]// 00000000786C: D3F30030 0CC23148
	v_mfma_f32_16x16x32_fp8_fp8 v[52:55], a[88:89], v[24:25], v[52:55]// 000000007874: D3F30034 0CD23158
	v_mfma_f32_16x16x32_fp8_fp8 v[48:51], a[74:75], v[26:27], v[48:51]// 00000000787C: D3F30030 0CC2354A
	v_mfma_f32_16x16x32_fp8_fp8 v[52:55], a[90:91], v[26:27], v[52:55]// 000000007884: D3F30034 0CD2355A
	buffer_load_dwordx4 a[120:123], v112, s[16:19], 0 offen offset:1024// 00000000788C: E05C1400 80847870
	s_waitcnt lgkmcnt(0)                                       // 000000007894: BF8CC07F
	v_mfma_f32_16x16x32_fp8_fp8 v[48:51], a[76:77], v[28:29], v[48:51]// 000000007898: D3F30030 0CC2394C
	v_mfma_f32_16x16x32_fp8_fp8 v[52:55], a[92:93], v[28:29], v[52:55]// 0000000078A0: D3F30034 0CD2395C
	v_mfma_f32_16x16x32_fp8_fp8 v[48:51], a[78:79], v[30:31], v[48:51]// 0000000078A8: D3F30030 0CC23D4E
	v_mfma_f32_16x16x32_fp8_fp8 v[52:55], a[94:95], v[30:31], v[52:55]// 0000000078B0: D3F30034 0CD23D5E
	buffer_load_dwordx4 a[124:127], v113, s[16:19], 0 offen offset:1024// 0000000078B8: E05C1400 80847C71
	s_load_dword s66, s[20:21], 0x0                            // 0000000078C0: C002108A 00000000
	s_addk_i32 s56, 0x100                                      // 0000000078C8: B7380100
	s_branch label_1D9C                                        // 0000000078CC: BF820928

00000000000078d0 <label_1474>:
	s_cmp_lt_i32 s56, s75                                      // 0000000078D0: BF044B38
	s_cbranch_scc0 label_1D9C                                  // 0000000078D4: BF840926
	s_waitcnt vmcnt(10)                                        // 0000000078D8: BF8C0F7A
	v_mfma_f32_16x16x32_fp8_fp8 v[16:19], a[32:33], v[8:9], 0  // 0000000078DC: D3F30010 0A021120
	s_add_u32 s12, s78, s69                                    // 0000000078E4: 800C454E
	s_addc_u32 s13, s79, 0                                     // 0000000078E8: 820D804F
	v_mfma_f32_16x16x32_fp8_fp8 v[16:19], a[34:35], v[10:11], v[16:19]// 0000000078EC: D3F30010 0C421522
	buffer_load_dwordx4 a[0:3], v108, s[12:15], 0 offen        // 0000000078F4: E05C1000 8083006C
	v_mfma_f32_16x16x32_fp8_fp8 v[16:19], a[36:37], v[12:13], v[16:19]// 0000000078FC: D3F30010 0C421924
	s_add_u32 s16, s80, s70                                    // 000000007904: 80104650
	s_addc_u32 s17, s81, 0                                     // 000000007908: 82118051
	v_mfma_f32_16x16x32_fp8_fp8 v[16:19], a[38:39], v[14:15], v[16:19]// 00000000790C: D3F30010 0C421D26
	s_add_u32 s24, s82, s71                                    // 000000007914: 80184752
	s_addc_u32 s25, s83, 0                                     // 000000007918: 82198053
	v_mfma_f32_16x16x32_fp8_fp8 v[20:23], a[40:41], v[8:9], 0  // 00000000791C: D3F30014 0A021128
	s_add_u32 s28, s84, s71                                    // 000000007924: 801C4754
	s_addc_u32 s29, s85, 0                                     // 000000007928: 821D8055
	v_mfma_f32_16x16x32_fp8_fp8 v[20:23], a[42:43], v[10:11], v[20:23]// 00000000792C: D3F30014 0C52152A
	buffer_load_dwordx4 a[4:7], v109, s[12:15], 0 offen        // 000000007934: E05C1000 8083046D
	v_mfma_f32_16x16x32_fp8_fp8 v[20:23], a[44:45], v[12:13], v[20:23]// 00000000793C: D3F30014 0C52192C
	s_add_u32 s69, s69, 0x1000                                 // 000000007944: 8045FF45 00001000
	s_add_u32 s70, s70, 0x8000                                 // 00000000794C: 8046FF46 00008000
	v_mfma_f32_16x16x32_fp8_fp8 v[20:23], a[46:47], v[14:15], v[20:23]// 000000007954: D3F30014 0C521D2E
	s_add_u32 s71, s71, 0x400                                  // 00000000795C: 8047FF47 00000400
	v_mfma_f32_16x16x32_fp8_fp8 v[24:27], a[48:49], v[8:9], 0  // 000000007964: D3F30018 0A021130
	v_mfma_f32_16x16x32_fp8_fp8 v[24:27], a[50:51], v[10:11], v[24:27]// 00000000796C: D3F30018 0C621532
	buffer_load_dwordx4 a[8:11], v108, s[12:15], 0 offen offset:1024// 000000007974: E05C1400 8083086C
	v_mfma_f32_16x16x32_fp8_fp8 v[24:27], a[52:53], v[12:13], v[24:27]// 00000000797C: D3F30018 0C621934
	v_mfma_f32_16x16x32_fp8_fp8 v[24:27], a[54:55], v[14:15], v[24:27]// 000000007984: D3F30018 0C621D36
	v_mfma_f32_16x16x32_fp8_fp8 v[28:31], a[56:57], v[8:9], 0  // 00000000798C: D3F3001C 0A021138
	v_mfma_f32_16x16x32_fp8_fp8 v[28:31], a[58:59], v[10:11], v[28:31]// 000000007994: D3F3001C 0C72153A
	buffer_load_dwordx4 a[12:15], v109, s[12:15], 0 offen offset:1024// 00000000799C: E05C1400 80830C6D
	v_mfma_f32_16x16x32_fp8_fp8 v[28:31], a[60:61], v[12:13], v[28:31]// 0000000079A4: D3F3001C 0C72193C
	v_mfma_f32_16x16x32_fp8_fp8 v[28:31], a[62:63], v[14:15], v[28:31]// 0000000079AC: D3F3001C 0C721D3E
	s_waitcnt vmcnt(12)                                        // 0000000079B4: BF8C0F7C
	v_pk_mul_f32 v[16:17], v[64:65], v[16:17]                  // 0000000079B8: D3B14010 18022140
	v_pk_mul_f32 v[18:19], v[64:65], v[18:19]                  // 0000000079C0: D3B14012 18022540
	v_mul_f32_dpp v16, v67, v16 row_newbcast:0 row_mask:0xf bank_mask:0xf// 0000000079C8: 0A2020FA FF015043
	v_mul_f32_dpp v17, v67, v17 row_newbcast:1 row_mask:0xf bank_mask:0xf// 0000000079D0: 0A2222FA FF015143
	v_mul_f32_dpp v18, v67, v18 row_newbcast:2 row_mask:0xf bank_mask:0xf// 0000000079D8: 0A2424FA FF015243
	v_mul_f32_dpp v19, v67, v19 row_newbcast:3 row_mask:0xf bank_mask:0xf// 0000000079E0: 0A2626FA FF015343
	v_pk_mul_f32 v[20:21], v[64:65], v[20:21]                  // 0000000079E8: D3B14014 18022940
	v_pk_mul_f32 v[22:23], v[64:65], v[22:23]                  // 0000000079F0: D3B14016 18022D40
	v_mul_f32_dpp v20, v67, v20 row_newbcast:4 row_mask:0xf bank_mask:0xf// 0000000079F8: 0A2828FA FF015443
	v_mul_f32_dpp v21, v67, v21 row_newbcast:5 row_mask:0xf bank_mask:0xf// 000000007A00: 0A2A2AFA FF015543
	v_mul_f32_dpp v22, v67, v22 row_newbcast:6 row_mask:0xf bank_mask:0xf// 000000007A08: 0A2C2CFA FF015643
	v_mul_f32_dpp v23, v67, v23 row_newbcast:7 row_mask:0xf bank_mask:0xf// 000000007A10: 0A2E2EFA FF015743
	v_pk_mul_f32 v[24:25], v[64:65], v[24:25]                  // 000000007A18: D3B14018 18023140
	v_pk_mul_f32 v[26:27], v[64:65], v[26:27]                  // 000000007A20: D3B1401A 18023540
	v_mul_f32_dpp v24, v67, v24 row_newbcast:8 row_mask:0xf bank_mask:0xf// 000000007A28: 0A3030FA FF015843
	v_mul_f32_dpp v25, v67, v25 row_newbcast:9 row_mask:0xf bank_mask:0xf// 000000007A30: 0A3232FA FF015943
	v_mul_f32_dpp v26, v67, v26 row_newbcast:10 row_mask:0xf bank_mask:0xf// 000000007A38: 0A3434FA FF015A43
	v_mul_f32_dpp v27, v67, v27 row_newbcast:11 row_mask:0xf bank_mask:0xf// 000000007A40: 0A3636FA FF015B43
	v_pk_mul_f32 v[28:29], v[64:65], v[28:29]                  // 000000007A48: D3B1401C 18023940
	v_pk_mul_f32 v[30:31], v[64:65], v[30:31]                  // 000000007A50: D3B1401E 18023D40
	v_mul_f32_dpp v28, v67, v28 row_newbcast:12 row_mask:0xf bank_mask:0xf// 000000007A58: 0A3838FA FF015C43
	v_mul_f32_dpp v29, v67, v29 row_newbcast:13 row_mask:0xf bank_mask:0xf// 000000007A60: 0A3A3AFA FF015D43
	v_mul_f32_dpp v30, v67, v30 row_newbcast:14 row_mask:0xf bank_mask:0xf// 000000007A68: 0A3C3CFA FF015E43
	v_mul_f32_dpp v31, v67, v31 row_newbcast:15 row_mask:0xf bank_mask:0xf// 000000007A70: 0A3E3EFA FF015F43
	buffer_load_dwordx4 a[16:19], v108, s[12:15], 0 offen offset:2048// 000000007A78: E05C1800 8083106C
	v_add_u32_e32 v72, s56, v104                               // 000000007A80: 6890D038
	v_add_u32_e32 v73, 0, v72                                  // 000000007A84: 68929080
	v_cmp_lt_u32_e64 s[86:87], v73, v103                       // 000000007A88: D0C90056 0002CF49
	s_nop 0                                                    // 000000007A90: BF800000
	v_cndmask_b32_e64 v16, v105, v16, s[86:87]                 // 000000007A94: D1000010 015A2169
	v_add_u32_e32 v73, 1, v72                                  // 000000007A9C: 68929081
	v_cmp_lt_u32_e64 s[86:87], v73, v103                       // 000000007AA0: D0C90056 0002CF49
	s_nop 0                                                    // 000000007AA8: BF800000
	v_cndmask_b32_e64 v17, v105, v17, s[86:87]                 // 000000007AAC: D1000011 015A2369
	v_add_u32_e32 v73, 2, v72                                  // 000000007AB4: 68929082
	v_cmp_lt_u32_e64 s[86:87], v73, v103                       // 000000007AB8: D0C90056 0002CF49
	s_nop 0                                                    // 000000007AC0: BF800000
	v_cndmask_b32_e64 v18, v105, v18, s[86:87]                 // 000000007AC4: D1000012 015A2569
	v_add_u32_e32 v73, 3, v72                                  // 000000007ACC: 68929083
	v_cmp_lt_u32_e64 s[86:87], v73, v103                       // 000000007AD0: D0C90056 0002CF49
	s_nop 0                                                    // 000000007AD8: BF800000
	v_cndmask_b32_e64 v19, v105, v19, s[86:87]                 // 000000007ADC: D1000013 015A2769
	v_add_u32_e32 v73, 64, v72                                 // 000000007AE4: 689290C0
	v_cmp_lt_u32_e64 s[86:87], v73, v103                       // 000000007AE8: D0C90056 0002CF49
	s_nop 0                                                    // 000000007AF0: BF800000
	v_cndmask_b32_e64 v20, v105, v20, s[86:87]                 // 000000007AF4: D1000014 015A2969
	v_add_u32_e32 v73, 0x41, v72                               // 000000007AFC: 689290FF 00000041
	v_cmp_lt_u32_e64 s[86:87], v73, v103                       // 000000007B04: D0C90056 0002CF49
	s_nop 0                                                    // 000000007B0C: BF800000
	v_cndmask_b32_e64 v21, v105, v21, s[86:87]                 // 000000007B10: D1000015 015A2B69
	v_add_u32_e32 v73, 0x42, v72                               // 000000007B18: 689290FF 00000042
	v_cmp_lt_u32_e64 s[86:87], v73, v103                       // 000000007B20: D0C90056 0002CF49
	s_nop 0                                                    // 000000007B28: BF800000
	v_cndmask_b32_e64 v22, v105, v22, s[86:87]                 // 000000007B2C: D1000016 015A2D69
	v_add_u32_e32 v73, 0x43, v72                               // 000000007B34: 689290FF 00000043
	v_cmp_lt_u32_e64 s[86:87], v73, v103                       // 000000007B3C: D0C90056 0002CF49
	s_nop 0                                                    // 000000007B44: BF800000
	v_cndmask_b32_e64 v23, v105, v23, s[86:87]                 // 000000007B48: D1000017 015A2F69
	v_add_u32_e32 v73, 0x80, v72                               // 000000007B50: 689290FF 00000080
	v_cmp_lt_u32_e64 s[86:87], v73, v103                       // 000000007B58: D0C90056 0002CF49
	s_nop 0                                                    // 000000007B60: BF800000
	v_cndmask_b32_e64 v24, v105, v24, s[86:87]                 // 000000007B64: D1000018 015A3169
	v_add_u32_e32 v73, 0x81, v72                               // 000000007B6C: 689290FF 00000081
	v_cmp_lt_u32_e64 s[86:87], v73, v103                       // 000000007B74: D0C90056 0002CF49
	s_nop 0                                                    // 000000007B7C: BF800000
	v_cndmask_b32_e64 v25, v105, v25, s[86:87]                 // 000000007B80: D1000019 015A3369
	v_add_u32_e32 v73, 0x82, v72                               // 000000007B88: 689290FF 00000082
	v_cmp_lt_u32_e64 s[86:87], v73, v103                       // 000000007B90: D0C90056 0002CF49
	s_nop 0                                                    // 000000007B98: BF800000
	v_cndmask_b32_e64 v26, v105, v26, s[86:87]                 // 000000007B9C: D100001A 015A3569
	v_add_u32_e32 v73, 0x83, v72                               // 000000007BA4: 689290FF 00000083
	v_cmp_lt_u32_e64 s[86:87], v73, v103                       // 000000007BAC: D0C90056 0002CF49
	s_nop 0                                                    // 000000007BB4: BF800000
	v_cndmask_b32_e64 v27, v105, v27, s[86:87]                 // 000000007BB8: D100001B 015A3769
	v_add_u32_e32 v73, 0xc0, v72                               // 000000007BC0: 689290FF 000000C0
	v_cmp_lt_u32_e64 s[86:87], v73, v103                       // 000000007BC8: D0C90056 0002CF49
	s_nop 0                                                    // 000000007BD0: BF800000
	v_cndmask_b32_e64 v28, v105, v28, s[86:87]                 // 000000007BD4: D100001C 015A3969
	v_add_u32_e32 v73, 0xc1, v72                               // 000000007BDC: 689290FF 000000C1
	v_cmp_lt_u32_e64 s[86:87], v73, v103                       // 000000007BE4: D0C90056 0002CF49
	s_nop 0                                                    // 000000007BEC: BF800000
	v_cndmask_b32_e64 v29, v105, v29, s[86:87]                 // 000000007BF0: D100001D 015A3B69
	v_add_u32_e32 v73, 0xc2, v72                               // 000000007BF8: 689290FF 000000C2
	v_cmp_lt_u32_e64 s[86:87], v73, v103                       // 000000007C00: D0C90056 0002CF49
	s_nop 0                                                    // 000000007C08: BF800000
	v_cndmask_b32_e64 v30, v105, v30, s[86:87]                 // 000000007C0C: D100001E 015A3D69
	v_add_u32_e32 v73, 0xc3, v72                               // 000000007C14: 689290FF 000000C3
	v_cmp_lt_u32_e64 s[86:87], v73, v103                       // 000000007C1C: D0C90056 0002CF49
	s_nop 0                                                    // 000000007C24: BF800000
	v_cndmask_b32_e64 v31, v105, v31, s[86:87]                 // 000000007C28: D100001F 015A3F69
	v_mov_b32_e32 v92, v16                                     // 000000007C30: 7EB80310
	v_max3_f32 v92, v16, v17, v92                              // 000000007C34: D1D3005C 05722310
	v_max3_f32 v92, v18, v19, v92                              // 000000007C3C: D1D3005C 05722712
	v_max3_f32 v92, v20, v21, v92                              // 000000007C44: D1D3005C 05722B14
	v_max3_f32 v92, v22, v23, v92                              // 000000007C4C: D1D3005C 05722F16
	v_max3_f32 v92, v24, v25, v92                              // 000000007C54: D1D3005C 05723318
	v_max3_f32 v92, v26, v27, v92                              // 000000007C5C: D1D3005C 0572371A
	v_max3_f32 v92, v28, v29, v92                              // 000000007C64: D1D3005C 05723B1C
	v_max3_f32 v92, v30, v31, v92                              // 000000007C6C: D1D3005C 05723F1E
	ds_write_b32 v124, v92                                     // 000000007C74: D81A0000 00005C7C
	v_pk_mul_f32 v[56:57], v[94:95], v[56:57]                  // 000000007C7C: D3B14038 1802715E
	v_pk_mul_f32 v[58:59], v[94:95], v[58:59]                  // 000000007C84: D3B1403A 1802755E
	v_pk_mul_f32 v[60:61], v[94:95], v[60:61]                  // 000000007C8C: D3B1403C 1802795E
	v_pk_mul_f32 v[62:63], v[94:95], v[62:63]                  // 000000007C94: D3B1403E 18027D5E
	buffer_load_dwordx4 a[20:23], v109, s[12:15], 0 offen offset:2048// 000000007C9C: E05C1800 8083146D
	s_waitcnt lgkmcnt(0)                                       // 000000007CA4: BF8CC07F
	s_barrier                                                  // 000000007CA8: BF8A0000
	ds_read_b32 v76, v125                                      // 000000007CAC: D86C0000 4C00007D
	ds_read_b32 v77, v125 offset:64                            // 000000007CB4: D86C0040 4D00007D
	ds_read_b32 v78, v125 offset:128                           // 000000007CBC: D86C0080 4E00007D
	ds_read_b32 v79, v125 offset:192                           // 000000007CC4: D86C00C0 4F00007D
	ds_read_b32 v80, v125 offset:256                           // 000000007CCC: D86C0100 5000007D
	ds_read_b32 v81, v125 offset:320                           // 000000007CD4: D86C0140 5100007D
	ds_read_b32 v82, v125 offset:384                           // 000000007CDC: D86C0180 5200007D
	ds_read_b32 v83, v125 offset:448                           // 000000007CE4: D86C01C0 5300007D
	ds_read_b32 v84, v125 offset:512                           // 000000007CEC: D86C0200 5400007D
	ds_read_b32 v85, v125 offset:576                           // 000000007CF4: D86C0240 5500007D
	ds_read_b32 v86, v125 offset:640                           // 000000007CFC: D86C0280 5600007D
	ds_read_b32 v87, v125 offset:704                           // 000000007D04: D86C02C0 5700007D
	ds_read_b32 v88, v125 offset:768                           // 000000007D0C: D86C0300 5800007D
	ds_read_b32 v89, v125 offset:832                           // 000000007D14: D86C0340 5900007D
	ds_read_b32 v90, v125 offset:896                           // 000000007D1C: D86C0380 5A00007D
	ds_read_b32 v91, v125 offset:960                           // 000000007D24: D86C03C0 5B00007D
	buffer_load_dwordx4 a[28:31], v109, s[12:15], 0 offen offset:3072// 000000007D2C: E05C1C00 80831C6D
	v_pk_mul_f32 v[48:49], v[70:71], v[48:49]                  // 000000007D34: D3B14030 18026146
	v_pk_mul_f32 v[50:51], v[70:71], v[50:51]                  // 000000007D3C: D3B14032 18026546
	v_pk_mul_f32 v[52:53], v[70:71], v[52:53]                  // 000000007D44: D3B14034 18026946
	v_pk_mul_f32 v[54:55], v[70:71], v[54:55]                  // 000000007D4C: D3B14036 18026D46
	buffer_load_dwordx4 a[24:27], v108, s[12:15], 0 offen offset:3072// 000000007D54: E05C1C00 8083186C
	s_waitcnt lgkmcnt(0)                                       // 000000007D5C: BF8CC07F
	v_max3_f32 v92, v76, v77, v92                              // 000000007D60: D1D3005C 05729B4C
	v_max3_f32 v92, v78, v79, v92                              // 000000007D68: D1D3005C 05729F4E
	v_max3_f32 v92, v80, v81, v92                              // 000000007D70: D1D3005C 0572A350
	v_max3_f32 v92, v82, v83, v92                              // 000000007D78: D1D3005C 0572A752
	v_max3_f32 v92, v84, v85, v92                              // 000000007D80: D1D3005C 0572AB54
	v_max3_f32 v92, v86, v87, v92                              // 000000007D88: D1D3005C 0572AF56
	v_max3_f32 v92, v88, v89, v92                              // 000000007D90: D1D3005C 0572B358
	v_max3_f32 v92, v90, v91, v92                              // 000000007D98: D1D3005C 0572B75A
	v_max_f32_e32 v97, v92, v96                                // 000000007DA0: 16C2C15C
	v_mul_f32_e64 v72, -s58, v97                               // 000000007DA4: D1050048 2002C23A
	v_mov_b32_e32 v73, v72                                     // 000000007DAC: 7E920348
	v_pk_fma_f32 v[16:17], v[16:17], s[88:89], v[72:73]        // 000000007DB0: D3B04010 1D20B110
	v_pk_fma_f32 v[18:19], v[18:19], s[88:89], v[72:73]        // 000000007DB8: D3B04012 1D20B112
	v_exp_f32_e32 v16, v16                                     // 000000007DC0: 7E204110
	v_exp_f32_e32 v17, v17                                     // 000000007DC4: 7E224111
	v_exp_f32_e32 v18, v18                                     // 000000007DC8: 7E244112
	v_exp_f32_e32 v19, v19                                     // 000000007DCC: 7E264113
	v_pk_fma_f32 v[20:21], v[20:21], s[88:89], v[72:73]        // 000000007DD0: D3B04014 1D20B114
	v_pk_fma_f32 v[22:23], v[22:23], s[88:89], v[72:73]        // 000000007DD8: D3B04016 1D20B116
	v_exp_f32_e32 v20, v20                                     // 000000007DE0: 7E284114
	v_exp_f32_e32 v21, v21                                     // 000000007DE4: 7E2A4115
	v_exp_f32_e32 v22, v22                                     // 000000007DE8: 7E2C4116
	v_exp_f32_e32 v23, v23                                     // 000000007DEC: 7E2E4117
	v_pk_fma_f32 v[24:25], v[24:25], s[88:89], v[72:73]        // 000000007DF0: D3B04018 1D20B118
	v_pk_fma_f32 v[26:27], v[26:27], s[88:89], v[72:73]        // 000000007DF8: D3B0401A 1D20B11A
	v_exp_f32_e32 v24, v24                                     // 000000007E00: 7E304118
	v_exp_f32_e32 v25, v25                                     // 000000007E04: 7E324119
	v_exp_f32_e32 v26, v26                                     // 000000007E08: 7E34411A
	v_exp_f32_e32 v27, v27                                     // 000000007E0C: 7E36411B
	v_pk_fma_f32 v[28:29], v[28:29], s[88:89], v[72:73]        // 000000007E10: D3B0401C 1D20B11C
	v_pk_fma_f32 v[30:31], v[30:31], s[88:89], v[72:73]        // 000000007E18: D3B0401E 1D20B11E
	v_exp_f32_e32 v28, v28                                     // 000000007E20: 7E38411C
	v_exp_f32_e32 v29, v29                                     // 000000007E24: 7E3A411D
	v_exp_f32_e32 v30, v30                                     // 000000007E28: 7E3C411E
	v_exp_f32_e32 v31, v31                                     // 000000007E2C: 7E3E411F
	v_mul_f32_dpp v32, v69, v16 row_newbcast:0 row_mask:0xf bank_mask:0xf// 000000007E30: 0A4020FA FF015045
	v_mul_f32_dpp v33, v69, v17 row_newbcast:1 row_mask:0xf bank_mask:0xf// 000000007E38: 0A4222FA FF015145
	v_mul_f32_dpp v34, v69, v18 row_newbcast:2 row_mask:0xf bank_mask:0xf// 000000007E40: 0A4424FA FF015245
	v_mul_f32_dpp v35, v69, v19 row_newbcast:3 row_mask:0xf bank_mask:0xf// 000000007E48: 0A4626FA FF015345
	v_mul_f32_dpp v36, v69, v20 row_newbcast:4 row_mask:0xf bank_mask:0xf// 000000007E50: 0A4828FA FF015445
	v_mul_f32_dpp v37, v69, v21 row_newbcast:5 row_mask:0xf bank_mask:0xf// 000000007E58: 0A4A2AFA FF015545
	v_mul_f32_dpp v38, v69, v22 row_newbcast:6 row_mask:0xf bank_mask:0xf// 000000007E60: 0A4C2CFA FF015645
	v_mul_f32_dpp v39, v69, v23 row_newbcast:7 row_mask:0xf bank_mask:0xf// 000000007E68: 0A4E2EFA FF015745
	v_mul_f32_dpp v40, v69, v24 row_newbcast:8 row_mask:0xf bank_mask:0xf// 000000007E70: 0A5030FA FF015845
	v_mul_f32_dpp v41, v69, v25 row_newbcast:9 row_mask:0xf bank_mask:0xf// 000000007E78: 0A5232FA FF015945
	v_mul_f32_dpp v42, v69, v26 row_newbcast:10 row_mask:0xf bank_mask:0xf// 000000007E80: 0A5434FA FF015A45
	v_mul_f32_dpp v43, v69, v27 row_newbcast:11 row_mask:0xf bank_mask:0xf// 000000007E88: 0A5636FA FF015B45
	v_mul_f32_dpp v44, v69, v28 row_newbcast:12 row_mask:0xf bank_mask:0xf// 000000007E90: 0A5838FA FF015C45
	v_mul_f32_dpp v45, v69, v29 row_newbcast:13 row_mask:0xf bank_mask:0xf// 000000007E98: 0A5A3AFA FF015D45
	v_mul_f32_dpp v46, v69, v30 row_newbcast:14 row_mask:0xf bank_mask:0xf// 000000007EA0: 0A5C3CFA FF015E45
	v_mul_f32_dpp v47, v69, v31 row_newbcast:15 row_mask:0xf bank_mask:0xf// 000000007EA8: 0A5E3EFA FF015F45
	v_mov_b32_e32 v92, 0x358637bd                              // 000000007EB0: 7EB802FF 358637BD
	v_max3_f32 v92, |v32|, |v33|, v92                          // 000000007EB8: D1D3035C 05724320
	v_max3_f32 v92, |v34|, |v35|, v92                          // 000000007EC0: D1D3035C 05724722
	v_max3_f32 v92, |v36|, |v37|, v92                          // 000000007EC8: D1D3035C 05724B24
	v_max3_f32 v92, |v38|, |v39|, v92                          // 000000007ED0: D1D3035C 05724F26
	v_max3_f32 v92, |v40|, |v41|, v92                          // 000000007ED8: D1D3035C 05725328
	v_max3_f32 v92, |v42|, |v43|, v92                          // 000000007EE0: D1D3035C 0572572A
	v_max3_f32 v92, |v44|, |v45|, v92                          // 000000007EE8: D1D3035C 05725B2C
	v_max3_f32 v92, |v46|, |v47|, v92                          // 000000007EF0: D1D3035C 05725F2E
	ds_write_b32 v124, v92 offset:1280                         // 000000007EF8: D81A0500 00005C7C
	buffer_load_dword v66, v114, s[24:27], 0 offen             // 000000007F00: E0501000 80064272
	v_sub_f32_e32 v94, v96, v97                                // 000000007F08: 04BCC360
	v_cmp_eq_u32_e64 s[86:87], v105, v96                       // 000000007F0C: D0CA0056 0002C169
	s_nop 0                                                    // 000000007F14: BF800000
	v_cndmask_b32_e64 v94, v94, 0, s[86:87]                    // 000000007F18: D100005E 0159015E
	v_mov_b32_e32 v96, v97                                     // 000000007F20: 7EC00361
	v_mul_f32_e32 v94, s58, v94                                // 000000007F24: 0ABCBC3A
	v_exp_f32_e32 v94, v94                                     // 000000007F28: 7EBC415E
	s_nop 0                                                    // 000000007F2C: BF800000
	v_mov_b32_e32 v95, v94                                     // 000000007F30: 7EBE035E
	buffer_load_dword v68, v115, s[28:31], 0 offen             // 000000007F34: E0501000 80074473
	s_waitcnt lgkmcnt(0)                                       // 000000007F3C: BF8CC07F
	s_barrier                                                  // 000000007F40: BF8A0000
	ds_read_b32 v76, v125 offset:1280                          // 000000007F44: D86C0500 4C00007D
	ds_read_b32 v77, v125 offset:1344                          // 000000007F4C: D86C0540 4D00007D
	ds_read_b32 v78, v125 offset:1408                          // 000000007F54: D86C0580 4E00007D
	ds_read_b32 v79, v125 offset:1472                          // 000000007F5C: D86C05C0 4F00007D
	ds_read_b32 v80, v125 offset:1536                          // 000000007F64: D86C0600 5000007D
	ds_read_b32 v81, v125 offset:1600                          // 000000007F6C: D86C0640 5100007D
	ds_read_b32 v82, v125 offset:1664                          // 000000007F74: D86C0680 5200007D
	ds_read_b32 v83, v125 offset:1728                          // 000000007F7C: D86C06C0 5300007D
	ds_read_b32 v84, v125 offset:1792                          // 000000007F84: D86C0700 5400007D
	ds_read_b32 v85, v125 offset:1856                          // 000000007F8C: D86C0740 5500007D
	ds_read_b32 v86, v125 offset:1920                          // 000000007F94: D86C0780 5600007D
	ds_read_b32 v87, v125 offset:1984                          // 000000007F9C: D86C07C0 5700007D
	ds_read_b32 v88, v125 offset:2048                          // 000000007FA4: D86C0800 5800007D
	ds_read_b32 v89, v125 offset:2112                          // 000000007FAC: D86C0840 5900007D
	ds_read_b32 v90, v125 offset:2176                          // 000000007FB4: D86C0880 5A00007D
	ds_read_b32 v91, v125 offset:2240                          // 000000007FBC: D86C08C0 5B00007D
	buffer_load_dwordx4 a[64:67], v110, s[16:19], 0 offen      // 000000007FC4: E05C1000 8084406E
	v_mul_f32_e32 v98, v94, v98                                // 000000007FCC: 0AC4C55E
	v_add_f32_e32 v98, v16, v98                                // 000000007FD0: 02C4C510
	v_add_f32_e32 v98, v17, v98                                // 000000007FD4: 02C4C511
	v_add_f32_e32 v98, v18, v98                                // 000000007FD8: 02C4C512
	v_add_f32_e32 v98, v19, v98                                // 000000007FDC: 02C4C513
	v_add_f32_e32 v98, v20, v98                                // 000000007FE0: 02C4C514
	v_add_f32_e32 v98, v21, v98                                // 000000007FE4: 02C4C515
	v_add_f32_e32 v98, v22, v98                                // 000000007FE8: 02C4C516
	v_add_f32_e32 v98, v23, v98                                // 000000007FEC: 02C4C517
	v_add_f32_e32 v98, v24, v98                                // 000000007FF0: 02C4C518
	v_add_f32_e32 v98, v25, v98                                // 000000007FF4: 02C4C519
	v_add_f32_e32 v98, v26, v98                                // 000000007FF8: 02C4C51A
	v_add_f32_e32 v98, v27, v98                                // 000000007FFC: 02C4C51B
	v_add_f32_e32 v98, v28, v98                                // 000000008000: 02C4C51C
	v_add_f32_e32 v98, v29, v98                                // 000000008004: 02C4C51D
	v_add_f32_e32 v98, v30, v98                                // 000000008008: 02C4C51E
	v_add_f32_e32 v98, v31, v98                                // 00000000800C: 02C4C51F
	buffer_load_dwordx4 a[68:71], v111, s[16:19], 0 offen      // 000000008010: E05C1000 8084446F
	s_waitcnt lgkmcnt(0)                                       // 000000008018: BF8CC07F
	v_max3_f32 v92, v76, v77, v92                              // 00000000801C: D1D3005C 05729B4C
	v_max3_f32 v92, v78, v79, v92                              // 000000008024: D1D3005C 05729F4E
	v_max3_f32 v92, v80, v81, v92                              // 00000000802C: D1D3005C 0572A350
	v_max3_f32 v92, v82, v83, v92                              // 000000008034: D1D3005C 0572A752
	v_max3_f32 v92, v84, v85, v92                              // 00000000803C: D1D3005C 0572AB54
	v_max3_f32 v92, v86, v87, v92                              // 000000008044: D1D3005C 0572AF56
	v_max3_f32 v92, v88, v89, v92                              // 00000000804C: D1D3005C 0572B358
	v_max3_f32 v92, v90, v91, v92                              // 000000008054: D1D3005C 0572B75A
	v_rcp_f32_e32 v92, v92                                     // 00000000805C: 7EB8455C
	s_nop 0                                                    // 000000008060: BF800000
	v_mul_f32_e32 v92, 0x43700000, v92                         // 000000008064: 0AB8B8FF 43700000
	v_mov_b32_e32 v93, v92                                     // 00000000806C: 7EBA035C
	v_pk_mul_f32 v[16:17], v[92:93], v[32:33]                  // 000000008070: D3B14010 1802415C
	v_pk_mul_f32 v[18:19], v[92:93], v[34:35]                  // 000000008078: D3B14012 1802455C
	v_pk_mul_f32 v[20:21], v[92:93], v[36:37]                  // 000000008080: D3B14014 1802495C
	v_pk_mul_f32 v[22:23], v[92:93], v[38:39]                  // 000000008088: D3B14016 18024D5C
	v_pk_mul_f32 v[24:25], v[92:93], v[40:41]                  // 000000008090: D3B14018 1802515C
	v_pk_mul_f32 v[26:27], v[92:93], v[42:43]                  // 000000008098: D3B1401A 1802555C
	v_pk_mul_f32 v[28:29], v[92:93], v[44:45]                  // 0000000080A0: D3B1401C 1802595C
	v_pk_mul_f32 v[30:31], v[92:93], v[46:47]                  // 0000000080A8: D3B1401E 18025D5C
	v_cvt_pk_fp8_f32 v16, v16, v17                             // 0000000080B0: D2A20010 00022310
	v_cvt_pk_fp8_f32 v16, v18, v19 op_sel:[0,0,1]              // 0000000080B8: D2A24010 00022712
	v_cvt_pk_fp8_f32 v17, v20, v21                             // 0000000080C0: D2A20011 00022B14
	v_cvt_pk_fp8_f32 v17, v22, v23 op_sel:[0,0,1]              // 0000000080C8: D2A24011 00022F16
	v_cvt_pk_fp8_f32 v18, v24, v25                             // 0000000080D0: D2A20012 00023318
	v_cvt_pk_fp8_f32 v18, v26, v27 op_sel:[0,0,1]              // 0000000080D8: D2A24012 0002371A
	v_cvt_pk_fp8_f32 v19, v28, v29                             // 0000000080E0: D2A20013 00023B1C
	v_cvt_pk_fp8_f32 v19, v30, v31 op_sel:[0,0,1]              // 0000000080E8: D2A24013 00023F1E
	ds_write_b32 v126, v16 offset:2560                         // 0000000080F0: D81A0A00 0000107E
	ds_write_b32 v126, v17 offset:3584                         // 0000000080F8: D81A0E00 0000117E
	ds_write_b32 v126, v18 offset:4608                         // 000000008100: D81A1200 0000127E
	ds_write_b32 v126, v19 offset:5632                         // 000000008108: D81A1600 0000137E
	v_rcp_f32_e32 v70, v92                                     // 000000008110: 7E8C455C
	s_nop 0                                                    // 000000008114: BF800000
	v_mov_b32_e32 v71, v70                                     // 000000008118: 7E8E0346
	buffer_load_dwordx4 a[72:75], v112, s[16:19], 0 offen      // 00000000811C: E05C1000 80844870
	v_pk_add_f32 v[56:57], v[56:57], v[48:49]                  // 000000008124: D3B24038 18026138
	v_pk_add_f32 v[58:59], v[58:59], v[50:51]                  // 00000000812C: D3B2403A 1802653A
	v_pk_add_f32 v[60:61], v[60:61], v[52:53]                  // 000000008134: D3B2403C 1802693C
	v_pk_add_f32 v[62:63], v[62:63], v[54:55]                  // 00000000813C: D3B2403E 18026D3E
	s_waitcnt lgkmcnt(0)                                       // 000000008144: BF8CC07F
	s_barrier                                                  // 000000008148: BF8A0000
	ds_read_b128 v[16:19], v127 offset:2560                    // 00000000814C: D9FE0A00 1000007F
	ds_read_b128 v[20:23], v127 offset:3584                    // 000000008154: D9FE0E00 1400007F
	ds_read_b128 v[24:27], v127 offset:4608                    // 00000000815C: D9FE1200 1800007F
	ds_read_b128 v[28:31], v127 offset:5632                    // 000000008164: D9FE1600 1C00007F
	buffer_load_dwordx4 a[76:79], v113, s[16:19], 0 offen      // 00000000816C: E05C1000 80844C71
	s_waitcnt vmcnt(14)                                        // 000000008174: BF8C0F7E
	s_waitcnt lgkmcnt(3)                                       // 000000008178: BF8CC37F
	v_mfma_f32_16x16x32_fp8_fp8 v[48:51], a[96:97], v[16:17], 0// 00000000817C: D3F30030 0A022160
	v_mfma_f32_16x16x32_fp8_fp8 v[52:55], a[112:113], v[16:17], 0// 000000008184: D3F30034 0A022170
	v_mfma_f32_16x16x32_fp8_fp8 v[48:51], a[98:99], v[18:19], v[48:51]// 00000000818C: D3F30030 0CC22562
	v_mfma_f32_16x16x32_fp8_fp8 v[52:55], a[114:115], v[18:19], v[52:55]// 000000008194: D3F30034 0CD22572
	buffer_load_dwordx4 a[80:83], v110, s[16:19], 0 offen offset:1024// 00000000819C: E05C1400 8084506E
	s_waitcnt lgkmcnt(2)                                       // 0000000081A4: BF8CC27F
	v_mfma_f32_16x16x32_fp8_fp8 v[48:51], a[100:101], v[20:21], v[48:51]// 0000000081A8: D3F30030 0CC22964
	v_mfma_f32_16x16x32_fp8_fp8 v[52:55], a[116:117], v[20:21], v[52:55]// 0000000081B0: D3F30034 0CD22974
	v_mfma_f32_16x16x32_fp8_fp8 v[48:51], a[102:103], v[22:23], v[48:51]// 0000000081B8: D3F30030 0CC22D66
	v_mfma_f32_16x16x32_fp8_fp8 v[52:55], a[118:119], v[22:23], v[52:55]// 0000000081C0: D3F30034 0CD22D76
	buffer_load_dwordx4 a[84:87], v111, s[16:19], 0 offen offset:1024// 0000000081C8: E05C1400 8084546F
	s_waitcnt lgkmcnt(1)                                       // 0000000081D0: BF8CC17F
	v_mfma_f32_16x16x32_fp8_fp8 v[48:51], a[104:105], v[24:25], v[48:51]// 0000000081D4: D3F30030 0CC23168
	v_mfma_f32_16x16x32_fp8_fp8 v[52:55], a[120:121], v[24:25], v[52:55]// 0000000081DC: D3F30034 0CD23178
	v_mfma_f32_16x16x32_fp8_fp8 v[48:51], a[106:107], v[26:27], v[48:51]// 0000000081E4: D3F30030 0CC2356A
	v_mfma_f32_16x16x32_fp8_fp8 v[52:55], a[122:123], v[26:27], v[52:55]// 0000000081EC: D3F30034 0CD2357A
	buffer_load_dwordx4 a[88:91], v112, s[16:19], 0 offen offset:1024// 0000000081F4: E05C1400 80845870
	s_waitcnt lgkmcnt(0)                                       // 0000000081FC: BF8CC07F
	v_mfma_f32_16x16x32_fp8_fp8 v[48:51], a[108:109], v[28:29], v[48:51]// 000000008200: D3F30030 0CC2396C
	v_mfma_f32_16x16x32_fp8_fp8 v[52:55], a[124:125], v[28:29], v[52:55]// 000000008208: D3F30034 0CD2397C
	v_mfma_f32_16x16x32_fp8_fp8 v[48:51], a[110:111], v[30:31], v[48:51]// 000000008210: D3F30030 0CC23D6E
	v_mfma_f32_16x16x32_fp8_fp8 v[52:55], a[126:127], v[30:31], v[52:55]// 000000008218: D3F30034 0CD23D7E
	buffer_load_dwordx4 a[92:95], v113, s[16:19], 0 offen offset:1024// 000000008220: E05C1400 80845C71
	s_addk_i32 s56, 0x100                                      // 000000008228: B7380100
	s_branch label_1B79                                        // 00000000822C: BF8204AD

0000000000008230 <label_16CC>:
	s_cmp_lt_i32 s56, s75                                      // 000000008230: BF044B38
	s_cbranch_scc0 label_1B79                                  // 000000008234: BF8404AB
	s_waitcnt vmcnt(10)                                        // 000000008238: BF8C0F7A
	v_mfma_f32_16x16x32_fp8_fp8 v[16:19], a[0:1], v[8:9], 0    // 00000000823C: D3F30010 0A021100
	s_add_u32 s12, s78, s69                                    // 000000008244: 800C454E
	s_addc_u32 s13, s79, 0                                     // 000000008248: 820D804F
	v_mfma_f32_16x16x32_fp8_fp8 v[16:19], a[2:3], v[10:11], v[16:19]// 00000000824C: D3F30010 0C421502
	buffer_load_dwordx4 a[32:35], v108, s[12:15], 0 offen      // 000000008254: E05C1000 8083206C
	v_mfma_f32_16x16x32_fp8_fp8 v[16:19], a[4:5], v[12:13], v[16:19]// 00000000825C: D3F30010 0C421904
	s_add_u32 s16, s80, s70                                    // 000000008264: 80104650
	s_addc_u32 s17, s81, 0                                     // 000000008268: 82118051
	v_mfma_f32_16x16x32_fp8_fp8 v[16:19], a[6:7], v[14:15], v[16:19]// 00000000826C: D3F30010 0C421D06
	s_add_u32 s24, s82, s71                                    // 000000008274: 80184752
	s_addc_u32 s25, s83, 0                                     // 000000008278: 82198053
	v_mfma_f32_16x16x32_fp8_fp8 v[20:23], a[8:9], v[8:9], 0    // 00000000827C: D3F30014 0A021108
	s_add_u32 s28, s84, s71                                    // 000000008284: 801C4754
	s_addc_u32 s29, s85, 0                                     // 000000008288: 821D8055
	v_mfma_f32_16x16x32_fp8_fp8 v[20:23], a[10:11], v[10:11], v[20:23]// 00000000828C: D3F30014 0C52150A
	buffer_load_dwordx4 a[36:39], v109, s[12:15], 0 offen      // 000000008294: E05C1000 8083246D
	v_mfma_f32_16x16x32_fp8_fp8 v[20:23], a[12:13], v[12:13], v[20:23]// 00000000829C: D3F30014 0C52190C
	s_mul_i32 s69, s66, s62                                    // 0000000082A4: 92453E42
	s_mov_b32 s70, s69                                         // 0000000082A8: BEC60045
	v_mfma_f32_16x16x32_fp8_fp8 v[20:23], a[14:15], v[14:15], v[20:23]// 0000000082AC: D3F30014 0C521D0E
	s_mul_i32 s71, s66, s64                                    // 0000000082B4: 92474042
	v_mfma_f32_16x16x32_fp8_fp8 v[24:27], a[16:17], v[8:9], 0  // 0000000082B8: D3F30018 0A021110
	v_mfma_f32_16x16x32_fp8_fp8 v[24:27], a[18:19], v[10:11], v[24:27]// 0000000082C0: D3F30018 0C621512
	buffer_load_dwordx4 a[40:43], v108, s[12:15], 0 offen offset:1024// 0000000082C8: E05C1400 8083286C
	v_mfma_f32_16x16x32_fp8_fp8 v[24:27], a[20:21], v[12:13], v[24:27]// 0000000082D0: D3F30018 0C621914
	v_mfma_f32_16x16x32_fp8_fp8 v[24:27], a[22:23], v[14:15], v[24:27]// 0000000082D8: D3F30018 0C621D16
	v_mfma_f32_16x16x32_fp8_fp8 v[28:31], a[24:25], v[8:9], 0  // 0000000082E0: D3F3001C 0A021118
	v_mfma_f32_16x16x32_fp8_fp8 v[28:31], a[26:27], v[10:11], v[28:31]// 0000000082E8: D3F3001C 0C72151A
	buffer_load_dwordx4 a[44:47], v109, s[12:15], 0 offen offset:1024// 0000000082F0: E05C1400 80832C6D
	v_mfma_f32_16x16x32_fp8_fp8 v[28:31], a[28:29], v[12:13], v[28:31]// 0000000082F8: D3F3001C 0C72191C
	v_mfma_f32_16x16x32_fp8_fp8 v[28:31], a[30:31], v[14:15], v[28:31]// 000000008300: D3F3001C 0C721D1E
	s_waitcnt vmcnt(12)                                        // 000000008308: BF8C0F7C
	v_pk_mul_f32 v[16:17], v[64:65], v[16:17]                  // 00000000830C: D3B14010 18022140
	v_pk_mul_f32 v[18:19], v[64:65], v[18:19]                  // 000000008314: D3B14012 18022540
	v_mul_f32_dpp v16, v66, v16 row_newbcast:0 row_mask:0xf bank_mask:0xf// 00000000831C: 0A2020FA FF015042
	v_mul_f32_dpp v17, v66, v17 row_newbcast:1 row_mask:0xf bank_mask:0xf// 000000008324: 0A2222FA FF015142
	v_mul_f32_dpp v18, v66, v18 row_newbcast:2 row_mask:0xf bank_mask:0xf// 00000000832C: 0A2424FA FF015242
	v_mul_f32_dpp v19, v66, v19 row_newbcast:3 row_mask:0xf bank_mask:0xf// 000000008334: 0A2626FA FF015342
	v_pk_mul_f32 v[20:21], v[64:65], v[20:21]                  // 00000000833C: D3B14014 18022940
	v_pk_mul_f32 v[22:23], v[64:65], v[22:23]                  // 000000008344: D3B14016 18022D40
	v_mul_f32_dpp v20, v66, v20 row_newbcast:4 row_mask:0xf bank_mask:0xf// 00000000834C: 0A2828FA FF015442
	v_mul_f32_dpp v21, v66, v21 row_newbcast:5 row_mask:0xf bank_mask:0xf// 000000008354: 0A2A2AFA FF015542
	v_mul_f32_dpp v22, v66, v22 row_newbcast:6 row_mask:0xf bank_mask:0xf// 00000000835C: 0A2C2CFA FF015642
	v_mul_f32_dpp v23, v66, v23 row_newbcast:7 row_mask:0xf bank_mask:0xf// 000000008364: 0A2E2EFA FF015742
	v_pk_mul_f32 v[24:25], v[64:65], v[24:25]                  // 00000000836C: D3B14018 18023140
	v_pk_mul_f32 v[26:27], v[64:65], v[26:27]                  // 000000008374: D3B1401A 18023540
	v_mul_f32_dpp v24, v66, v24 row_newbcast:8 row_mask:0xf bank_mask:0xf// 00000000837C: 0A3030FA FF015842
	v_mul_f32_dpp v25, v66, v25 row_newbcast:9 row_mask:0xf bank_mask:0xf// 000000008384: 0A3232FA FF015942
	v_mul_f32_dpp v26, v66, v26 row_newbcast:10 row_mask:0xf bank_mask:0xf// 00000000838C: 0A3434FA FF015A42
	v_mul_f32_dpp v27, v66, v27 row_newbcast:11 row_mask:0xf bank_mask:0xf// 000000008394: 0A3636FA FF015B42
	v_pk_mul_f32 v[28:29], v[64:65], v[28:29]                  // 00000000839C: D3B1401C 18023940
	v_pk_mul_f32 v[30:31], v[64:65], v[30:31]                  // 0000000083A4: D3B1401E 18023D40
	v_mul_f32_dpp v28, v66, v28 row_newbcast:12 row_mask:0xf bank_mask:0xf// 0000000083AC: 0A3838FA FF015C42
	v_mul_f32_dpp v29, v66, v29 row_newbcast:13 row_mask:0xf bank_mask:0xf// 0000000083B4: 0A3A3AFA FF015D42
	v_mul_f32_dpp v30, v66, v30 row_newbcast:14 row_mask:0xf bank_mask:0xf// 0000000083BC: 0A3C3CFA FF015E42
	v_mul_f32_dpp v31, v66, v31 row_newbcast:15 row_mask:0xf bank_mask:0xf// 0000000083C4: 0A3E3EFA FF015F42
	buffer_load_dwordx4 a[48:51], v108, s[12:15], 0 offen offset:2048// 0000000083CC: E05C1800 8083306C
	v_add_u32_e32 v72, s56, v104                               // 0000000083D4: 6890D038
	v_add_u32_e32 v73, 0, v72                                  // 0000000083D8: 68929080
	v_cmp_lt_u32_e64 s[86:87], v73, v103                       // 0000000083DC: D0C90056 0002CF49
	s_nop 0                                                    // 0000000083E4: BF800000
	v_cndmask_b32_e64 v16, v105, v16, s[86:87]                 // 0000000083E8: D1000010 015A2169
	v_add_u32_e32 v73, 1, v72                                  // 0000000083F0: 68929081
	v_cmp_lt_u32_e64 s[86:87], v73, v103                       // 0000000083F4: D0C90056 0002CF49
	s_nop 0                                                    // 0000000083FC: BF800000
	v_cndmask_b32_e64 v17, v105, v17, s[86:87]                 // 000000008400: D1000011 015A2369
	v_add_u32_e32 v73, 2, v72                                  // 000000008408: 68929082
	v_cmp_lt_u32_e64 s[86:87], v73, v103                       // 00000000840C: D0C90056 0002CF49
	s_nop 0                                                    // 000000008414: BF800000
	v_cndmask_b32_e64 v18, v105, v18, s[86:87]                 // 000000008418: D1000012 015A2569
	v_add_u32_e32 v73, 3, v72                                  // 000000008420: 68929083
	v_cmp_lt_u32_e64 s[86:87], v73, v103                       // 000000008424: D0C90056 0002CF49
	s_nop 0                                                    // 00000000842C: BF800000
	v_cndmask_b32_e64 v19, v105, v19, s[86:87]                 // 000000008430: D1000013 015A2769
	v_add_u32_e32 v73, 64, v72                                 // 000000008438: 689290C0
	v_cmp_lt_u32_e64 s[86:87], v73, v103                       // 00000000843C: D0C90056 0002CF49
	s_nop 0                                                    // 000000008444: BF800000
	v_cndmask_b32_e64 v20, v105, v20, s[86:87]                 // 000000008448: D1000014 015A2969
	v_add_u32_e32 v73, 0x41, v72                               // 000000008450: 689290FF 00000041
	v_cmp_lt_u32_e64 s[86:87], v73, v103                       // 000000008458: D0C90056 0002CF49
	s_nop 0                                                    // 000000008460: BF800000
	v_cndmask_b32_e64 v21, v105, v21, s[86:87]                 // 000000008464: D1000015 015A2B69
	v_add_u32_e32 v73, 0x42, v72                               // 00000000846C: 689290FF 00000042
	v_cmp_lt_u32_e64 s[86:87], v73, v103                       // 000000008474: D0C90056 0002CF49
	s_nop 0                                                    // 00000000847C: BF800000
	v_cndmask_b32_e64 v22, v105, v22, s[86:87]                 // 000000008480: D1000016 015A2D69
	v_add_u32_e32 v73, 0x43, v72                               // 000000008488: 689290FF 00000043
	v_cmp_lt_u32_e64 s[86:87], v73, v103                       // 000000008490: D0C90056 0002CF49
	s_nop 0                                                    // 000000008498: BF800000
	v_cndmask_b32_e64 v23, v105, v23, s[86:87]                 // 00000000849C: D1000017 015A2F69
	v_add_u32_e32 v73, 0x80, v72                               // 0000000084A4: 689290FF 00000080
	v_cmp_lt_u32_e64 s[86:87], v73, v103                       // 0000000084AC: D0C90056 0002CF49
	s_nop 0                                                    // 0000000084B4: BF800000
	v_cndmask_b32_e64 v24, v105, v24, s[86:87]                 // 0000000084B8: D1000018 015A3169
	v_add_u32_e32 v73, 0x81, v72                               // 0000000084C0: 689290FF 00000081
	v_cmp_lt_u32_e64 s[86:87], v73, v103                       // 0000000084C8: D0C90056 0002CF49
	s_nop 0                                                    // 0000000084D0: BF800000
	v_cndmask_b32_e64 v25, v105, v25, s[86:87]                 // 0000000084D4: D1000019 015A3369
	v_add_u32_e32 v73, 0x82, v72                               // 0000000084DC: 689290FF 00000082
	v_cmp_lt_u32_e64 s[86:87], v73, v103                       // 0000000084E4: D0C90056 0002CF49
	s_nop 0                                                    // 0000000084EC: BF800000
	v_cndmask_b32_e64 v26, v105, v26, s[86:87]                 // 0000000084F0: D100001A 015A3569
	v_add_u32_e32 v73, 0x83, v72                               // 0000000084F8: 689290FF 00000083
	v_cmp_lt_u32_e64 s[86:87], v73, v103                       // 000000008500: D0C90056 0002CF49
	s_nop 0                                                    // 000000008508: BF800000
	v_cndmask_b32_e64 v27, v105, v27, s[86:87]                 // 00000000850C: D100001B 015A3769
	v_add_u32_e32 v73, 0xc0, v72                               // 000000008514: 689290FF 000000C0
	v_cmp_lt_u32_e64 s[86:87], v73, v103                       // 00000000851C: D0C90056 0002CF49
	s_nop 0                                                    // 000000008524: BF800000
	v_cndmask_b32_e64 v28, v105, v28, s[86:87]                 // 000000008528: D100001C 015A3969
	v_add_u32_e32 v73, 0xc1, v72                               // 000000008530: 689290FF 000000C1
	v_cmp_lt_u32_e64 s[86:87], v73, v103                       // 000000008538: D0C90056 0002CF49
	s_nop 0                                                    // 000000008540: BF800000
	v_cndmask_b32_e64 v29, v105, v29, s[86:87]                 // 000000008544: D100001D 015A3B69
	v_add_u32_e32 v73, 0xc2, v72                               // 00000000854C: 689290FF 000000C2
	v_cmp_lt_u32_e64 s[86:87], v73, v103                       // 000000008554: D0C90056 0002CF49
	s_nop 0                                                    // 00000000855C: BF800000
	v_cndmask_b32_e64 v30, v105, v30, s[86:87]                 // 000000008560: D100001E 015A3D69
	v_add_u32_e32 v73, 0xc3, v72                               // 000000008568: 689290FF 000000C3
	v_cmp_lt_u32_e64 s[86:87], v73, v103                       // 000000008570: D0C90056 0002CF49
	s_nop 0                                                    // 000000008578: BF800000
	v_cndmask_b32_e64 v31, v105, v31, s[86:87]                 // 00000000857C: D100001F 015A3F69
	v_mov_b32_e32 v92, v16                                     // 000000008584: 7EB80310
	v_max3_f32 v92, v16, v17, v92                              // 000000008588: D1D3005C 05722310
	v_max3_f32 v92, v18, v19, v92                              // 000000008590: D1D3005C 05722712
	v_max3_f32 v92, v20, v21, v92                              // 000000008598: D1D3005C 05722B14
	v_max3_f32 v92, v22, v23, v92                              // 0000000085A0: D1D3005C 05722F16
	v_max3_f32 v92, v24, v25, v92                              // 0000000085A8: D1D3005C 05723318
	v_max3_f32 v92, v26, v27, v92                              // 0000000085B0: D1D3005C 0572371A
	v_max3_f32 v92, v28, v29, v92                              // 0000000085B8: D1D3005C 05723B1C
	v_max3_f32 v92, v30, v31, v92                              // 0000000085C0: D1D3005C 05723F1E
	ds_write_b32 v124, v92                                     // 0000000085C8: D81A0000 00005C7C
	v_pk_mul_f32 v[56:57], v[94:95], v[56:57]                  // 0000000085D0: D3B14038 1802715E
	v_pk_mul_f32 v[58:59], v[94:95], v[58:59]                  // 0000000085D8: D3B1403A 1802755E
	v_pk_mul_f32 v[60:61], v[94:95], v[60:61]                  // 0000000085E0: D3B1403C 1802795E
	v_pk_mul_f32 v[62:63], v[94:95], v[62:63]                  // 0000000085E8: D3B1403E 18027D5E
	buffer_load_dwordx4 a[52:55], v109, s[12:15], 0 offen offset:2048// 0000000085F0: E05C1800 8083346D
	s_waitcnt lgkmcnt(0)                                       // 0000000085F8: BF8CC07F
	s_barrier                                                  // 0000000085FC: BF8A0000
	ds_read_b32 v76, v125                                      // 000000008600: D86C0000 4C00007D
	ds_read_b32 v77, v125 offset:64                            // 000000008608: D86C0040 4D00007D
	ds_read_b32 v78, v125 offset:128                           // 000000008610: D86C0080 4E00007D
	ds_read_b32 v79, v125 offset:192                           // 000000008618: D86C00C0 4F00007D
	ds_read_b32 v80, v125 offset:256                           // 000000008620: D86C0100 5000007D
	ds_read_b32 v81, v125 offset:320                           // 000000008628: D86C0140 5100007D
	ds_read_b32 v82, v125 offset:384                           // 000000008630: D86C0180 5200007D
	ds_read_b32 v83, v125 offset:448                           // 000000008638: D86C01C0 5300007D
	ds_read_b32 v84, v125 offset:512                           // 000000008640: D86C0200 5400007D
	ds_read_b32 v85, v125 offset:576                           // 000000008648: D86C0240 5500007D
	ds_read_b32 v86, v125 offset:640                           // 000000008650: D86C0280 5600007D
	ds_read_b32 v87, v125 offset:704                           // 000000008658: D86C02C0 5700007D
	ds_read_b32 v88, v125 offset:768                           // 000000008660: D86C0300 5800007D
	ds_read_b32 v89, v125 offset:832                           // 000000008668: D86C0340 5900007D
	ds_read_b32 v90, v125 offset:896                           // 000000008670: D86C0380 5A00007D
	ds_read_b32 v91, v125 offset:960                           // 000000008678: D86C03C0 5B00007D
	buffer_load_dwordx4 a[60:63], v109, s[12:15], 0 offen offset:3072// 000000008680: E05C1C00 80833C6D
	v_pk_mul_f32 v[48:49], v[70:71], v[48:49]                  // 000000008688: D3B14030 18026146
	v_pk_mul_f32 v[50:51], v[70:71], v[50:51]                  // 000000008690: D3B14032 18026546
	v_pk_mul_f32 v[52:53], v[70:71], v[52:53]                  // 000000008698: D3B14034 18026946
	v_pk_mul_f32 v[54:55], v[70:71], v[54:55]                  // 0000000086A0: D3B14036 18026D46
	buffer_load_dwordx4 a[56:59], v108, s[12:15], 0 offen offset:3072// 0000000086A8: E05C1C00 8083386C
	s_waitcnt lgkmcnt(0)                                       // 0000000086B0: BF8CC07F
	v_max3_f32 v92, v76, v77, v92                              // 0000000086B4: D1D3005C 05729B4C
	v_max3_f32 v92, v78, v79, v92                              // 0000000086BC: D1D3005C 05729F4E
	v_max3_f32 v92, v80, v81, v92                              // 0000000086C4: D1D3005C 0572A350
	v_max3_f32 v92, v82, v83, v92                              // 0000000086CC: D1D3005C 0572A752
	v_max3_f32 v92, v84, v85, v92                              // 0000000086D4: D1D3005C 0572AB54
	v_max3_f32 v92, v86, v87, v92                              // 0000000086DC: D1D3005C 0572AF56
	v_max3_f32 v92, v88, v89, v92                              // 0000000086E4: D1D3005C 0572B358
	v_max3_f32 v92, v90, v91, v92                              // 0000000086EC: D1D3005C 0572B75A
	v_max_f32_e32 v97, v92, v96                                // 0000000086F4: 16C2C15C
	v_mul_f32_e64 v72, -s58, v97                               // 0000000086F8: D1050048 2002C23A
	v_mov_b32_e32 v73, v72                                     // 000000008700: 7E920348
	v_pk_fma_f32 v[16:17], v[16:17], s[88:89], v[72:73]        // 000000008704: D3B04010 1D20B110
	v_pk_fma_f32 v[18:19], v[18:19], s[88:89], v[72:73]        // 00000000870C: D3B04012 1D20B112
	v_exp_f32_e32 v16, v16                                     // 000000008714: 7E204110
	v_exp_f32_e32 v17, v17                                     // 000000008718: 7E224111
	v_exp_f32_e32 v18, v18                                     // 00000000871C: 7E244112
	v_exp_f32_e32 v19, v19                                     // 000000008720: 7E264113
	v_pk_fma_f32 v[20:21], v[20:21], s[88:89], v[72:73]        // 000000008724: D3B04014 1D20B114
	v_pk_fma_f32 v[22:23], v[22:23], s[88:89], v[72:73]        // 00000000872C: D3B04016 1D20B116
	v_exp_f32_e32 v20, v20                                     // 000000008734: 7E284114
	v_exp_f32_e32 v21, v21                                     // 000000008738: 7E2A4115
	v_exp_f32_e32 v22, v22                                     // 00000000873C: 7E2C4116
	v_exp_f32_e32 v23, v23                                     // 000000008740: 7E2E4117
	v_pk_fma_f32 v[24:25], v[24:25], s[88:89], v[72:73]        // 000000008744: D3B04018 1D20B118
	v_pk_fma_f32 v[26:27], v[26:27], s[88:89], v[72:73]        // 00000000874C: D3B0401A 1D20B11A
	v_exp_f32_e32 v24, v24                                     // 000000008754: 7E304118
	v_exp_f32_e32 v25, v25                                     // 000000008758: 7E324119
	v_exp_f32_e32 v26, v26                                     // 00000000875C: 7E34411A
	v_exp_f32_e32 v27, v27                                     // 000000008760: 7E36411B
	v_pk_fma_f32 v[28:29], v[28:29], s[88:89], v[72:73]        // 000000008764: D3B0401C 1D20B11C
	v_pk_fma_f32 v[30:31], v[30:31], s[88:89], v[72:73]        // 00000000876C: D3B0401E 1D20B11E
	v_exp_f32_e32 v28, v28                                     // 000000008774: 7E38411C
	v_exp_f32_e32 v29, v29                                     // 000000008778: 7E3A411D
	v_exp_f32_e32 v30, v30                                     // 00000000877C: 7E3C411E
	v_exp_f32_e32 v31, v31                                     // 000000008780: 7E3E411F
	v_mul_f32_dpp v32, v68, v16 row_newbcast:0 row_mask:0xf bank_mask:0xf// 000000008784: 0A4020FA FF015044
	v_mul_f32_dpp v33, v68, v17 row_newbcast:1 row_mask:0xf bank_mask:0xf// 00000000878C: 0A4222FA FF015144
	v_mul_f32_dpp v34, v68, v18 row_newbcast:2 row_mask:0xf bank_mask:0xf// 000000008794: 0A4424FA FF015244
	v_mul_f32_dpp v35, v68, v19 row_newbcast:3 row_mask:0xf bank_mask:0xf// 00000000879C: 0A4626FA FF015344
	v_mul_f32_dpp v36, v68, v20 row_newbcast:4 row_mask:0xf bank_mask:0xf// 0000000087A4: 0A4828FA FF015444
	v_mul_f32_dpp v37, v68, v21 row_newbcast:5 row_mask:0xf bank_mask:0xf// 0000000087AC: 0A4A2AFA FF015544
	v_mul_f32_dpp v38, v68, v22 row_newbcast:6 row_mask:0xf bank_mask:0xf// 0000000087B4: 0A4C2CFA FF015644
	v_mul_f32_dpp v39, v68, v23 row_newbcast:7 row_mask:0xf bank_mask:0xf// 0000000087BC: 0A4E2EFA FF015744
	v_mul_f32_dpp v40, v68, v24 row_newbcast:8 row_mask:0xf bank_mask:0xf// 0000000087C4: 0A5030FA FF015844
	v_mul_f32_dpp v41, v68, v25 row_newbcast:9 row_mask:0xf bank_mask:0xf// 0000000087CC: 0A5232FA FF015944
	v_mul_f32_dpp v42, v68, v26 row_newbcast:10 row_mask:0xf bank_mask:0xf// 0000000087D4: 0A5434FA FF015A44
	v_mul_f32_dpp v43, v68, v27 row_newbcast:11 row_mask:0xf bank_mask:0xf// 0000000087DC: 0A5636FA FF015B44
	v_mul_f32_dpp v44, v68, v28 row_newbcast:12 row_mask:0xf bank_mask:0xf// 0000000087E4: 0A5838FA FF015C44
	v_mul_f32_dpp v45, v68, v29 row_newbcast:13 row_mask:0xf bank_mask:0xf// 0000000087EC: 0A5A3AFA FF015D44
	v_mul_f32_dpp v46, v68, v30 row_newbcast:14 row_mask:0xf bank_mask:0xf// 0000000087F4: 0A5C3CFA FF015E44
	v_mul_f32_dpp v47, v68, v31 row_newbcast:15 row_mask:0xf bank_mask:0xf// 0000000087FC: 0A5E3EFA FF015F44
	v_mov_b32_e32 v92, 0x358637bd                              // 000000008804: 7EB802FF 358637BD
	v_max3_f32 v92, |v32|, |v33|, v92                          // 00000000880C: D1D3035C 05724320
	v_max3_f32 v92, |v34|, |v35|, v92                          // 000000008814: D1D3035C 05724722
	v_max3_f32 v92, |v36|, |v37|, v92                          // 00000000881C: D1D3035C 05724B24
	v_max3_f32 v92, |v38|, |v39|, v92                          // 000000008824: D1D3035C 05724F26
	v_max3_f32 v92, |v40|, |v41|, v92                          // 00000000882C: D1D3035C 05725328
	v_max3_f32 v92, |v42|, |v43|, v92                          // 000000008834: D1D3035C 0572572A
	v_max3_f32 v92, |v44|, |v45|, v92                          // 00000000883C: D1D3035C 05725B2C
	v_max3_f32 v92, |v46|, |v47|, v92                          // 000000008844: D1D3035C 05725F2E
	ds_write_b32 v124, v92 offset:1280                         // 00000000884C: D81A0500 00005C7C
	buffer_load_dword v67, v114, s[24:27], 0 offen             // 000000008854: E0501000 80064372
	v_sub_f32_e32 v94, v96, v97                                // 00000000885C: 04BCC360
	v_cmp_eq_u32_e64 s[86:87], v105, v96                       // 000000008860: D0CA0056 0002C169
	s_nop 0                                                    // 000000008868: BF800000
	v_cndmask_b32_e64 v94, v94, 0, s[86:87]                    // 00000000886C: D100005E 0159015E
	v_mov_b32_e32 v96, v97                                     // 000000008874: 7EC00361
	v_mul_f32_e32 v94, s58, v94                                // 000000008878: 0ABCBC3A
	v_exp_f32_e32 v94, v94                                     // 00000000887C: 7EBC415E
	s_nop 0                                                    // 000000008880: BF800000
	v_mov_b32_e32 v95, v94                                     // 000000008884: 7EBE035E
	buffer_load_dword v69, v115, s[28:31], 0 offen             // 000000008888: E0501000 80074573
	s_waitcnt lgkmcnt(0)                                       // 000000008890: BF8CC07F
	s_barrier                                                  // 000000008894: BF8A0000
	ds_read_b32 v76, v125 offset:1280                          // 000000008898: D86C0500 4C00007D
	ds_read_b32 v77, v125 offset:1344                          // 0000000088A0: D86C0540 4D00007D
	ds_read_b32 v78, v125 offset:1408                          // 0000000088A8: D86C0580 4E00007D
	ds_read_b32 v79, v125 offset:1472                          // 0000000088B0: D86C05C0 4F00007D
	ds_read_b32 v80, v125 offset:1536                          // 0000000088B8: D86C0600 5000007D
	ds_read_b32 v81, v125 offset:1600                          // 0000000088C0: D86C0640 5100007D
	ds_read_b32 v82, v125 offset:1664                          // 0000000088C8: D86C0680 5200007D
	ds_read_b32 v83, v125 offset:1728                          // 0000000088D0: D86C06C0 5300007D
	ds_read_b32 v84, v125 offset:1792                          // 0000000088D8: D86C0700 5400007D
	ds_read_b32 v85, v125 offset:1856                          // 0000000088E0: D86C0740 5500007D
	ds_read_b32 v86, v125 offset:1920                          // 0000000088E8: D86C0780 5600007D
	ds_read_b32 v87, v125 offset:1984                          // 0000000088F0: D86C07C0 5700007D
	ds_read_b32 v88, v125 offset:2048                          // 0000000088F8: D86C0800 5800007D
	ds_read_b32 v89, v125 offset:2112                          // 000000008900: D86C0840 5900007D
	ds_read_b32 v90, v125 offset:2176                          // 000000008908: D86C0880 5A00007D
	ds_read_b32 v91, v125 offset:2240                          // 000000008910: D86C08C0 5B00007D
	buffer_load_dwordx4 a[96:99], v110, s[16:19], 0 offen      // 000000008918: E05C1000 8084606E
	v_mul_f32_e32 v98, v94, v98                                // 000000008920: 0AC4C55E
	v_add_f32_e32 v98, v16, v98                                // 000000008924: 02C4C510
	v_add_f32_e32 v98, v17, v98                                // 000000008928: 02C4C511
	v_add_f32_e32 v98, v18, v98                                // 00000000892C: 02C4C512
	v_add_f32_e32 v98, v19, v98                                // 000000008930: 02C4C513
	v_add_f32_e32 v98, v20, v98                                // 000000008934: 02C4C514
	v_add_f32_e32 v98, v21, v98                                // 000000008938: 02C4C515
	v_add_f32_e32 v98, v22, v98                                // 00000000893C: 02C4C516
	v_add_f32_e32 v98, v23, v98                                // 000000008940: 02C4C517
	v_add_f32_e32 v98, v24, v98                                // 000000008944: 02C4C518
	v_add_f32_e32 v98, v25, v98                                // 000000008948: 02C4C519
	v_add_f32_e32 v98, v26, v98                                // 00000000894C: 02C4C51A
	v_add_f32_e32 v98, v27, v98                                // 000000008950: 02C4C51B
	v_add_f32_e32 v98, v28, v98                                // 000000008954: 02C4C51C
	v_add_f32_e32 v98, v29, v98                                // 000000008958: 02C4C51D
	v_add_f32_e32 v98, v30, v98                                // 00000000895C: 02C4C51E
	v_add_f32_e32 v98, v31, v98                                // 000000008960: 02C4C51F
	buffer_load_dwordx4 a[100:103], v111, s[16:19], 0 offen    // 000000008964: E05C1000 8084646F
	s_waitcnt lgkmcnt(0)                                       // 00000000896C: BF8CC07F
	v_max3_f32 v92, v76, v77, v92                              // 000000008970: D1D3005C 05729B4C
	v_max3_f32 v92, v78, v79, v92                              // 000000008978: D1D3005C 05729F4E
	v_max3_f32 v92, v80, v81, v92                              // 000000008980: D1D3005C 0572A350
	v_max3_f32 v92, v82, v83, v92                              // 000000008988: D1D3005C 0572A752
	v_max3_f32 v92, v84, v85, v92                              // 000000008990: D1D3005C 0572AB54
	v_max3_f32 v92, v86, v87, v92                              // 000000008998: D1D3005C 0572AF56
	v_max3_f32 v92, v88, v89, v92                              // 0000000089A0: D1D3005C 0572B358
	v_max3_f32 v92, v90, v91, v92                              // 0000000089A8: D1D3005C 0572B75A
	v_rcp_f32_e32 v92, v92                                     // 0000000089B0: 7EB8455C
	s_nop 0                                                    // 0000000089B4: BF800000
	v_mul_f32_e32 v92, 0x43700000, v92                         // 0000000089B8: 0AB8B8FF 43700000
	v_mov_b32_e32 v93, v92                                     // 0000000089C0: 7EBA035C
	v_pk_mul_f32 v[16:17], v[92:93], v[32:33]                  // 0000000089C4: D3B14010 1802415C
	v_pk_mul_f32 v[18:19], v[92:93], v[34:35]                  // 0000000089CC: D3B14012 1802455C
	v_pk_mul_f32 v[20:21], v[92:93], v[36:37]                  // 0000000089D4: D3B14014 1802495C
	v_pk_mul_f32 v[22:23], v[92:93], v[38:39]                  // 0000000089DC: D3B14016 18024D5C
	v_pk_mul_f32 v[24:25], v[92:93], v[40:41]                  // 0000000089E4: D3B14018 1802515C
	v_pk_mul_f32 v[26:27], v[92:93], v[42:43]                  // 0000000089EC: D3B1401A 1802555C
	v_pk_mul_f32 v[28:29], v[92:93], v[44:45]                  // 0000000089F4: D3B1401C 1802595C
	v_pk_mul_f32 v[30:31], v[92:93], v[46:47]                  // 0000000089FC: D3B1401E 18025D5C
	v_cvt_pk_fp8_f32 v16, v16, v17                             // 000000008A04: D2A20010 00022310
	v_cvt_pk_fp8_f32 v16, v18, v19 op_sel:[0,0,1]              // 000000008A0C: D2A24010 00022712
	v_cvt_pk_fp8_f32 v17, v20, v21                             // 000000008A14: D2A20011 00022B14
	v_cvt_pk_fp8_f32 v17, v22, v23 op_sel:[0,0,1]              // 000000008A1C: D2A24011 00022F16
	v_cvt_pk_fp8_f32 v18, v24, v25                             // 000000008A24: D2A20012 00023318
	v_cvt_pk_fp8_f32 v18, v26, v27 op_sel:[0,0,1]              // 000000008A2C: D2A24012 0002371A
	v_cvt_pk_fp8_f32 v19, v28, v29                             // 000000008A34: D2A20013 00023B1C
	v_cvt_pk_fp8_f32 v19, v30, v31 op_sel:[0,0,1]              // 000000008A3C: D2A24013 00023F1E
	ds_write_b32 v126, v16 offset:2560                         // 000000008A44: D81A0A00 0000107E
	ds_write_b32 v126, v17 offset:3584                         // 000000008A4C: D81A0E00 0000117E
	ds_write_b32 v126, v18 offset:4608                         // 000000008A54: D81A1200 0000127E
	ds_write_b32 v126, v19 offset:5632                         // 000000008A5C: D81A1600 0000137E
	v_rcp_f32_e32 v70, v92                                     // 000000008A64: 7E8C455C
	s_nop 0                                                    // 000000008A68: BF800000
	v_mov_b32_e32 v71, v70                                     // 000000008A6C: 7E8E0346
	buffer_load_dwordx4 a[104:107], v112, s[16:19], 0 offen    // 000000008A70: E05C1000 80846870
	v_pk_add_f32 v[56:57], v[56:57], v[48:49]                  // 000000008A78: D3B24038 18026138
	v_pk_add_f32 v[58:59], v[58:59], v[50:51]                  // 000000008A80: D3B2403A 1802653A
	v_pk_add_f32 v[60:61], v[60:61], v[52:53]                  // 000000008A88: D3B2403C 1802693C
	v_pk_add_f32 v[62:63], v[62:63], v[54:55]                  // 000000008A90: D3B2403E 18026D3E
	s_waitcnt lgkmcnt(0)                                       // 000000008A98: BF8CC07F
	s_barrier                                                  // 000000008A9C: BF8A0000
	ds_read_b128 v[16:19], v127 offset:2560                    // 000000008AA0: D9FE0A00 1000007F
	ds_read_b128 v[20:23], v127 offset:3584                    // 000000008AA8: D9FE0E00 1400007F
	ds_read_b128 v[24:27], v127 offset:4608                    // 000000008AB0: D9FE1200 1800007F
	ds_read_b128 v[28:31], v127 offset:5632                    // 000000008AB8: D9FE1600 1C00007F
	buffer_load_dwordx4 a[108:111], v113, s[16:19], 0 offen    // 000000008AC0: E05C1000 80846C71
	s_waitcnt vmcnt(14)                                        // 000000008AC8: BF8C0F7E
	s_waitcnt lgkmcnt(3)                                       // 000000008ACC: BF8CC37F
	v_mfma_f32_16x16x32_fp8_fp8 v[48:51], a[64:65], v[16:17], 0// 000000008AD0: D3F30030 0A022140
	v_mfma_f32_16x16x32_fp8_fp8 v[52:55], a[80:81], v[16:17], 0// 000000008AD8: D3F30034 0A022150
	v_mfma_f32_16x16x32_fp8_fp8 v[48:51], a[66:67], v[18:19], v[48:51]// 000000008AE0: D3F30030 0CC22542
	v_mfma_f32_16x16x32_fp8_fp8 v[52:55], a[82:83], v[18:19], v[52:55]// 000000008AE8: D3F30034 0CD22552
	buffer_load_dwordx4 a[112:115], v110, s[16:19], 0 offen offset:1024// 000000008AF0: E05C1400 8084706E
	s_waitcnt lgkmcnt(2)                                       // 000000008AF8: BF8CC27F
	v_mfma_f32_16x16x32_fp8_fp8 v[48:51], a[68:69], v[20:21], v[48:51]// 000000008AFC: D3F30030 0CC22944
	v_mfma_f32_16x16x32_fp8_fp8 v[52:55], a[84:85], v[20:21], v[52:55]// 000000008B04: D3F30034 0CD22954
	v_mfma_f32_16x16x32_fp8_fp8 v[48:51], a[70:71], v[22:23], v[48:51]// 000000008B0C: D3F30030 0CC22D46
	v_mfma_f32_16x16x32_fp8_fp8 v[52:55], a[86:87], v[22:23], v[52:55]// 000000008B14: D3F30034 0CD22D56
	buffer_load_dwordx4 a[116:119], v111, s[16:19], 0 offen offset:1024// 000000008B1C: E05C1400 8084746F
	s_waitcnt lgkmcnt(1)                                       // 000000008B24: BF8CC17F
	v_mfma_f32_16x16x32_fp8_fp8 v[48:51], a[72:73], v[24:25], v[48:51]// 000000008B28: D3F30030 0CC23148
	v_mfma_f32_16x16x32_fp8_fp8 v[52:55], a[88:89], v[24:25], v[52:55]// 000000008B30: D3F30034 0CD23158
	v_mfma_f32_16x16x32_fp8_fp8 v[48:51], a[74:75], v[26:27], v[48:51]// 000000008B38: D3F30030 0CC2354A
	v_mfma_f32_16x16x32_fp8_fp8 v[52:55], a[90:91], v[26:27], v[52:55]// 000000008B40: D3F30034 0CD2355A
	buffer_load_dwordx4 a[120:123], v112, s[16:19], 0 offen offset:1024// 000000008B48: E05C1400 80847870
	s_waitcnt lgkmcnt(0)                                       // 000000008B50: BF8CC07F
	v_mfma_f32_16x16x32_fp8_fp8 v[48:51], a[76:77], v[28:29], v[48:51]// 000000008B54: D3F30030 0CC2394C
	v_mfma_f32_16x16x32_fp8_fp8 v[52:55], a[92:93], v[28:29], v[52:55]// 000000008B5C: D3F30034 0CD2395C
	v_mfma_f32_16x16x32_fp8_fp8 v[48:51], a[78:79], v[30:31], v[48:51]// 000000008B64: D3F30030 0CC23D4E
	v_mfma_f32_16x16x32_fp8_fp8 v[52:55], a[94:95], v[30:31], v[52:55]// 000000008B6C: D3F30034 0CD23D5E
	buffer_load_dwordx4 a[124:127], v113, s[16:19], 0 offen offset:1024// 000000008B74: E05C1400 80847C71
	s_addk_i32 s56, 0x100                                      // 000000008B7C: B7380100
	s_branch label_1D9C                                        // 000000008B80: BF82047B

0000000000008b84 <label_1921>:
	s_cmp_lt_i32 s56, s75                                      // 000000008B84: BF044B38
	s_cbranch_scc0 label_1D9C                                  // 000000008B88: BF840479
	s_waitcnt vmcnt(10)                                        // 000000008B8C: BF8C0F7A
	v_mfma_f32_16x16x32_fp8_fp8 v[16:19], a[32:33], v[8:9], 0  // 000000008B90: D3F30010 0A021120
	s_add_u32 s12, s78, s69                                    // 000000008B98: 800C454E
	s_addc_u32 s13, s79, 0                                     // 000000008B9C: 820D804F
	v_mfma_f32_16x16x32_fp8_fp8 v[16:19], a[34:35], v[10:11], v[16:19]// 000000008BA0: D3F30010 0C421522
	buffer_load_dwordx4 a[0:3], v108, s[12:15], 0 offen        // 000000008BA8: E05C1000 8083006C
	v_mfma_f32_16x16x32_fp8_fp8 v[16:19], a[36:37], v[12:13], v[16:19]// 000000008BB0: D3F30010 0C421924
	s_add_u32 s16, s80, s70                                    // 000000008BB8: 80104650
	s_addc_u32 s17, s81, 0                                     // 000000008BBC: 82118051
	v_mfma_f32_16x16x32_fp8_fp8 v[16:19], a[38:39], v[14:15], v[16:19]// 000000008BC0: D3F30010 0C421D26
	s_add_u32 s24, s82, s71                                    // 000000008BC8: 80184752
	s_addc_u32 s25, s83, 0                                     // 000000008BCC: 82198053
	v_mfma_f32_16x16x32_fp8_fp8 v[20:23], a[40:41], v[8:9], 0  // 000000008BD0: D3F30014 0A021128
	s_add_u32 s28, s84, s71                                    // 000000008BD8: 801C4754
	s_addc_u32 s29, s85, 0                                     // 000000008BDC: 821D8055
	v_mfma_f32_16x16x32_fp8_fp8 v[20:23], a[42:43], v[10:11], v[20:23]// 000000008BE0: D3F30014 0C52152A
	buffer_load_dwordx4 a[4:7], v109, s[12:15], 0 offen        // 000000008BE8: E05C1000 8083046D
	v_mfma_f32_16x16x32_fp8_fp8 v[20:23], a[44:45], v[12:13], v[20:23]// 000000008BF0: D3F30014 0C52192C
	s_add_u32 s69, s69, 0x1000                                 // 000000008BF8: 8045FF45 00001000
	s_add_u32 s70, s70, 0x8000                                 // 000000008C00: 8046FF46 00008000
	v_mfma_f32_16x16x32_fp8_fp8 v[20:23], a[46:47], v[14:15], v[20:23]// 000000008C08: D3F30014 0C521D2E
	s_add_u32 s71, s71, 0x400                                  // 000000008C10: 8047FF47 00000400
	v_mfma_f32_16x16x32_fp8_fp8 v[24:27], a[48:49], v[8:9], 0  // 000000008C18: D3F30018 0A021130
	v_mfma_f32_16x16x32_fp8_fp8 v[24:27], a[50:51], v[10:11], v[24:27]// 000000008C20: D3F30018 0C621532
	buffer_load_dwordx4 a[8:11], v108, s[12:15], 0 offen offset:1024// 000000008C28: E05C1400 8083086C
	v_mfma_f32_16x16x32_fp8_fp8 v[24:27], a[52:53], v[12:13], v[24:27]// 000000008C30: D3F30018 0C621934
	v_mfma_f32_16x16x32_fp8_fp8 v[24:27], a[54:55], v[14:15], v[24:27]// 000000008C38: D3F30018 0C621D36
	v_mfma_f32_16x16x32_fp8_fp8 v[28:31], a[56:57], v[8:9], 0  // 000000008C40: D3F3001C 0A021138
	v_mfma_f32_16x16x32_fp8_fp8 v[28:31], a[58:59], v[10:11], v[28:31]// 000000008C48: D3F3001C 0C72153A
	buffer_load_dwordx4 a[12:15], v109, s[12:15], 0 offen offset:1024// 000000008C50: E05C1400 80830C6D
	v_mfma_f32_16x16x32_fp8_fp8 v[28:31], a[60:61], v[12:13], v[28:31]// 000000008C58: D3F3001C 0C72193C
	v_mfma_f32_16x16x32_fp8_fp8 v[28:31], a[62:63], v[14:15], v[28:31]// 000000008C60: D3F3001C 0C721D3E
	s_waitcnt vmcnt(12)                                        // 000000008C68: BF8C0F7C
	v_pk_mul_f32 v[16:17], v[64:65], v[16:17]                  // 000000008C6C: D3B14010 18022140
	v_pk_mul_f32 v[18:19], v[64:65], v[18:19]                  // 000000008C74: D3B14012 18022540
	v_mul_f32_dpp v16, v67, v16 row_newbcast:0 row_mask:0xf bank_mask:0xf// 000000008C7C: 0A2020FA FF015043
	v_mul_f32_dpp v17, v67, v17 row_newbcast:1 row_mask:0xf bank_mask:0xf// 000000008C84: 0A2222FA FF015143
	v_mul_f32_dpp v18, v67, v18 row_newbcast:2 row_mask:0xf bank_mask:0xf// 000000008C8C: 0A2424FA FF015243
	v_mul_f32_dpp v19, v67, v19 row_newbcast:3 row_mask:0xf bank_mask:0xf// 000000008C94: 0A2626FA FF015343
	v_pk_mul_f32 v[20:21], v[64:65], v[20:21]                  // 000000008C9C: D3B14014 18022940
	v_pk_mul_f32 v[22:23], v[64:65], v[22:23]                  // 000000008CA4: D3B14016 18022D40
	v_mul_f32_dpp v20, v67, v20 row_newbcast:4 row_mask:0xf bank_mask:0xf// 000000008CAC: 0A2828FA FF015443
	v_mul_f32_dpp v21, v67, v21 row_newbcast:5 row_mask:0xf bank_mask:0xf// 000000008CB4: 0A2A2AFA FF015543
	v_mul_f32_dpp v22, v67, v22 row_newbcast:6 row_mask:0xf bank_mask:0xf// 000000008CBC: 0A2C2CFA FF015643
	v_mul_f32_dpp v23, v67, v23 row_newbcast:7 row_mask:0xf bank_mask:0xf// 000000008CC4: 0A2E2EFA FF015743
	v_pk_mul_f32 v[24:25], v[64:65], v[24:25]                  // 000000008CCC: D3B14018 18023140
	v_pk_mul_f32 v[26:27], v[64:65], v[26:27]                  // 000000008CD4: D3B1401A 18023540
	v_mul_f32_dpp v24, v67, v24 row_newbcast:8 row_mask:0xf bank_mask:0xf// 000000008CDC: 0A3030FA FF015843
	v_mul_f32_dpp v25, v67, v25 row_newbcast:9 row_mask:0xf bank_mask:0xf// 000000008CE4: 0A3232FA FF015943
	v_mul_f32_dpp v26, v67, v26 row_newbcast:10 row_mask:0xf bank_mask:0xf// 000000008CEC: 0A3434FA FF015A43
	v_mul_f32_dpp v27, v67, v27 row_newbcast:11 row_mask:0xf bank_mask:0xf// 000000008CF4: 0A3636FA FF015B43
	v_pk_mul_f32 v[28:29], v[64:65], v[28:29]                  // 000000008CFC: D3B1401C 18023940
	v_pk_mul_f32 v[30:31], v[64:65], v[30:31]                  // 000000008D04: D3B1401E 18023D40
	v_mul_f32_dpp v28, v67, v28 row_newbcast:12 row_mask:0xf bank_mask:0xf// 000000008D0C: 0A3838FA FF015C43
	v_mul_f32_dpp v29, v67, v29 row_newbcast:13 row_mask:0xf bank_mask:0xf// 000000008D14: 0A3A3AFA FF015D43
	v_mul_f32_dpp v30, v67, v30 row_newbcast:14 row_mask:0xf bank_mask:0xf// 000000008D1C: 0A3C3CFA FF015E43
	v_mul_f32_dpp v31, v67, v31 row_newbcast:15 row_mask:0xf bank_mask:0xf// 000000008D24: 0A3E3EFA FF015F43
	buffer_load_dwordx4 a[16:19], v108, s[12:15], 0 offen offset:2048// 000000008D2C: E05C1800 8083106C
	v_add_u32_e32 v72, s56, v104                               // 000000008D34: 6890D038
	v_add_u32_e32 v73, 0, v72                                  // 000000008D38: 68929080
	v_cmp_lt_u32_e64 s[86:87], v73, v103                       // 000000008D3C: D0C90056 0002CF49
	s_nop 0                                                    // 000000008D44: BF800000
	v_cndmask_b32_e64 v16, v105, v16, s[86:87]                 // 000000008D48: D1000010 015A2169
	v_add_u32_e32 v73, 1, v72                                  // 000000008D50: 68929081
	v_cmp_lt_u32_e64 s[86:87], v73, v103                       // 000000008D54: D0C90056 0002CF49
	s_nop 0                                                    // 000000008D5C: BF800000
	v_cndmask_b32_e64 v17, v105, v17, s[86:87]                 // 000000008D60: D1000011 015A2369
	v_add_u32_e32 v73, 2, v72                                  // 000000008D68: 68929082
	v_cmp_lt_u32_e64 s[86:87], v73, v103                       // 000000008D6C: D0C90056 0002CF49
	s_nop 0                                                    // 000000008D74: BF800000
	v_cndmask_b32_e64 v18, v105, v18, s[86:87]                 // 000000008D78: D1000012 015A2569
	v_add_u32_e32 v73, 3, v72                                  // 000000008D80: 68929083
	v_cmp_lt_u32_e64 s[86:87], v73, v103                       // 000000008D84: D0C90056 0002CF49
	s_nop 0                                                    // 000000008D8C: BF800000
	v_cndmask_b32_e64 v19, v105, v19, s[86:87]                 // 000000008D90: D1000013 015A2769
	v_add_u32_e32 v73, 64, v72                                 // 000000008D98: 689290C0
	v_cmp_lt_u32_e64 s[86:87], v73, v103                       // 000000008D9C: D0C90056 0002CF49
	s_nop 0                                                    // 000000008DA4: BF800000
	v_cndmask_b32_e64 v20, v105, v20, s[86:87]                 // 000000008DA8: D1000014 015A2969
	v_add_u32_e32 v73, 0x41, v72                               // 000000008DB0: 689290FF 00000041
	v_cmp_lt_u32_e64 s[86:87], v73, v103                       // 000000008DB8: D0C90056 0002CF49
	s_nop 0                                                    // 000000008DC0: BF800000
	v_cndmask_b32_e64 v21, v105, v21, s[86:87]                 // 000000008DC4: D1000015 015A2B69
	v_add_u32_e32 v73, 0x42, v72                               // 000000008DCC: 689290FF 00000042
	v_cmp_lt_u32_e64 s[86:87], v73, v103                       // 000000008DD4: D0C90056 0002CF49
	s_nop 0                                                    // 000000008DDC: BF800000
	v_cndmask_b32_e64 v22, v105, v22, s[86:87]                 // 000000008DE0: D1000016 015A2D69
	v_add_u32_e32 v73, 0x43, v72                               // 000000008DE8: 689290FF 00000043
	v_cmp_lt_u32_e64 s[86:87], v73, v103                       // 000000008DF0: D0C90056 0002CF49
	s_nop 0                                                    // 000000008DF8: BF800000
	v_cndmask_b32_e64 v23, v105, v23, s[86:87]                 // 000000008DFC: D1000017 015A2F69
	v_add_u32_e32 v73, 0x80, v72                               // 000000008E04: 689290FF 00000080
	v_cmp_lt_u32_e64 s[86:87], v73, v103                       // 000000008E0C: D0C90056 0002CF49
	s_nop 0                                                    // 000000008E14: BF800000
	v_cndmask_b32_e64 v24, v105, v24, s[86:87]                 // 000000008E18: D1000018 015A3169
	v_add_u32_e32 v73, 0x81, v72                               // 000000008E20: 689290FF 00000081
	v_cmp_lt_u32_e64 s[86:87], v73, v103                       // 000000008E28: D0C90056 0002CF49
	s_nop 0                                                    // 000000008E30: BF800000
	v_cndmask_b32_e64 v25, v105, v25, s[86:87]                 // 000000008E34: D1000019 015A3369
	v_add_u32_e32 v73, 0x82, v72                               // 000000008E3C: 689290FF 00000082
	v_cmp_lt_u32_e64 s[86:87], v73, v103                       // 000000008E44: D0C90056 0002CF49
	s_nop 0                                                    // 000000008E4C: BF800000
	v_cndmask_b32_e64 v26, v105, v26, s[86:87]                 // 000000008E50: D100001A 015A3569
	v_add_u32_e32 v73, 0x83, v72                               // 000000008E58: 689290FF 00000083
	v_cmp_lt_u32_e64 s[86:87], v73, v103                       // 000000008E60: D0C90056 0002CF49
	s_nop 0                                                    // 000000008E68: BF800000
	v_cndmask_b32_e64 v27, v105, v27, s[86:87]                 // 000000008E6C: D100001B 015A3769
	v_add_u32_e32 v73, 0xc0, v72                               // 000000008E74: 689290FF 000000C0
	v_cmp_lt_u32_e64 s[86:87], v73, v103                       // 000000008E7C: D0C90056 0002CF49
	s_nop 0                                                    // 000000008E84: BF800000
	v_cndmask_b32_e64 v28, v105, v28, s[86:87]                 // 000000008E88: D100001C 015A3969
	v_add_u32_e32 v73, 0xc1, v72                               // 000000008E90: 689290FF 000000C1
	v_cmp_lt_u32_e64 s[86:87], v73, v103                       // 000000008E98: D0C90056 0002CF49
	s_nop 0                                                    // 000000008EA0: BF800000
	v_cndmask_b32_e64 v29, v105, v29, s[86:87]                 // 000000008EA4: D100001D 015A3B69
	v_add_u32_e32 v73, 0xc2, v72                               // 000000008EAC: 689290FF 000000C2
	v_cmp_lt_u32_e64 s[86:87], v73, v103                       // 000000008EB4: D0C90056 0002CF49
	s_nop 0                                                    // 000000008EBC: BF800000
	v_cndmask_b32_e64 v30, v105, v30, s[86:87]                 // 000000008EC0: D100001E 015A3D69
	v_add_u32_e32 v73, 0xc3, v72                               // 000000008EC8: 689290FF 000000C3
	v_cmp_lt_u32_e64 s[86:87], v73, v103                       // 000000008ED0: D0C90056 0002CF49
	s_nop 0                                                    // 000000008ED8: BF800000
	v_cndmask_b32_e64 v31, v105, v31, s[86:87]                 // 000000008EDC: D100001F 015A3F69
	v_mov_b32_e32 v92, v16                                     // 000000008EE4: 7EB80310
	v_max3_f32 v92, v16, v17, v92                              // 000000008EE8: D1D3005C 05722310
	v_max3_f32 v92, v18, v19, v92                              // 000000008EF0: D1D3005C 05722712
	v_max3_f32 v92, v20, v21, v92                              // 000000008EF8: D1D3005C 05722B14
	v_max3_f32 v92, v22, v23, v92                              // 000000008F00: D1D3005C 05722F16
	v_max3_f32 v92, v24, v25, v92                              // 000000008F08: D1D3005C 05723318
	v_max3_f32 v92, v26, v27, v92                              // 000000008F10: D1D3005C 0572371A
	v_max3_f32 v92, v28, v29, v92                              // 000000008F18: D1D3005C 05723B1C
	v_max3_f32 v92, v30, v31, v92                              // 000000008F20: D1D3005C 05723F1E
	ds_write_b32 v124, v92                                     // 000000008F28: D81A0000 00005C7C
	v_pk_mul_f32 v[56:57], v[94:95], v[56:57]                  // 000000008F30: D3B14038 1802715E
	v_pk_mul_f32 v[58:59], v[94:95], v[58:59]                  // 000000008F38: D3B1403A 1802755E
	v_pk_mul_f32 v[60:61], v[94:95], v[60:61]                  // 000000008F40: D3B1403C 1802795E
	v_pk_mul_f32 v[62:63], v[94:95], v[62:63]                  // 000000008F48: D3B1403E 18027D5E
	buffer_load_dwordx4 a[20:23], v109, s[12:15], 0 offen offset:2048// 000000008F50: E05C1800 8083146D
	s_waitcnt lgkmcnt(0)                                       // 000000008F58: BF8CC07F
	s_barrier                                                  // 000000008F5C: BF8A0000
	ds_read_b32 v76, v125                                      // 000000008F60: D86C0000 4C00007D
	ds_read_b32 v77, v125 offset:64                            // 000000008F68: D86C0040 4D00007D
	ds_read_b32 v78, v125 offset:128                           // 000000008F70: D86C0080 4E00007D
	ds_read_b32 v79, v125 offset:192                           // 000000008F78: D86C00C0 4F00007D
	ds_read_b32 v80, v125 offset:256                           // 000000008F80: D86C0100 5000007D
	ds_read_b32 v81, v125 offset:320                           // 000000008F88: D86C0140 5100007D
	ds_read_b32 v82, v125 offset:384                           // 000000008F90: D86C0180 5200007D
	ds_read_b32 v83, v125 offset:448                           // 000000008F98: D86C01C0 5300007D
	ds_read_b32 v84, v125 offset:512                           // 000000008FA0: D86C0200 5400007D
	ds_read_b32 v85, v125 offset:576                           // 000000008FA8: D86C0240 5500007D
	ds_read_b32 v86, v125 offset:640                           // 000000008FB0: D86C0280 5600007D
	ds_read_b32 v87, v125 offset:704                           // 000000008FB8: D86C02C0 5700007D
	ds_read_b32 v88, v125 offset:768                           // 000000008FC0: D86C0300 5800007D
	ds_read_b32 v89, v125 offset:832                           // 000000008FC8: D86C0340 5900007D
	ds_read_b32 v90, v125 offset:896                           // 000000008FD0: D86C0380 5A00007D
	ds_read_b32 v91, v125 offset:960                           // 000000008FD8: D86C03C0 5B00007D
	buffer_load_dwordx4 a[28:31], v109, s[12:15], 0 offen offset:3072// 000000008FE0: E05C1C00 80831C6D
	v_pk_mul_f32 v[48:49], v[70:71], v[48:49]                  // 000000008FE8: D3B14030 18026146
	v_pk_mul_f32 v[50:51], v[70:71], v[50:51]                  // 000000008FF0: D3B14032 18026546
	v_pk_mul_f32 v[52:53], v[70:71], v[52:53]                  // 000000008FF8: D3B14034 18026946
	v_pk_mul_f32 v[54:55], v[70:71], v[54:55]                  // 000000009000: D3B14036 18026D46
	buffer_load_dwordx4 a[24:27], v108, s[12:15], 0 offen offset:3072// 000000009008: E05C1C00 8083186C
	s_waitcnt lgkmcnt(0)                                       // 000000009010: BF8CC07F
	v_max3_f32 v92, v76, v77, v92                              // 000000009014: D1D3005C 05729B4C
	v_max3_f32 v92, v78, v79, v92                              // 00000000901C: D1D3005C 05729F4E
	v_max3_f32 v92, v80, v81, v92                              // 000000009024: D1D3005C 0572A350
	v_max3_f32 v92, v82, v83, v92                              // 00000000902C: D1D3005C 0572A752
	v_max3_f32 v92, v84, v85, v92                              // 000000009034: D1D3005C 0572AB54
	v_max3_f32 v92, v86, v87, v92                              // 00000000903C: D1D3005C 0572AF56
	v_max3_f32 v92, v88, v89, v92                              // 000000009044: D1D3005C 0572B358
	v_max3_f32 v92, v90, v91, v92                              // 00000000904C: D1D3005C 0572B75A
	v_max_f32_e32 v97, v92, v96                                // 000000009054: 16C2C15C
	v_mul_f32_e64 v72, -s58, v97                               // 000000009058: D1050048 2002C23A
	v_mov_b32_e32 v73, v72                                     // 000000009060: 7E920348
	v_pk_fma_f32 v[16:17], v[16:17], s[88:89], v[72:73]        // 000000009064: D3B04010 1D20B110
	v_pk_fma_f32 v[18:19], v[18:19], s[88:89], v[72:73]        // 00000000906C: D3B04012 1D20B112
	v_exp_f32_e32 v16, v16                                     // 000000009074: 7E204110
	v_exp_f32_e32 v17, v17                                     // 000000009078: 7E224111
	v_exp_f32_e32 v18, v18                                     // 00000000907C: 7E244112
	v_exp_f32_e32 v19, v19                                     // 000000009080: 7E264113
	v_pk_fma_f32 v[20:21], v[20:21], s[88:89], v[72:73]        // 000000009084: D3B04014 1D20B114
	v_pk_fma_f32 v[22:23], v[22:23], s[88:89], v[72:73]        // 00000000908C: D3B04016 1D20B116
	v_exp_f32_e32 v20, v20                                     // 000000009094: 7E284114
	v_exp_f32_e32 v21, v21                                     // 000000009098: 7E2A4115
	v_exp_f32_e32 v22, v22                                     // 00000000909C: 7E2C4116
	v_exp_f32_e32 v23, v23                                     // 0000000090A0: 7E2E4117
	v_pk_fma_f32 v[24:25], v[24:25], s[88:89], v[72:73]        // 0000000090A4: D3B04018 1D20B118
	v_pk_fma_f32 v[26:27], v[26:27], s[88:89], v[72:73]        // 0000000090AC: D3B0401A 1D20B11A
	v_exp_f32_e32 v24, v24                                     // 0000000090B4: 7E304118
	v_exp_f32_e32 v25, v25                                     // 0000000090B8: 7E324119
	v_exp_f32_e32 v26, v26                                     // 0000000090BC: 7E34411A
	v_exp_f32_e32 v27, v27                                     // 0000000090C0: 7E36411B
	v_pk_fma_f32 v[28:29], v[28:29], s[88:89], v[72:73]        // 0000000090C4: D3B0401C 1D20B11C
	v_pk_fma_f32 v[30:31], v[30:31], s[88:89], v[72:73]        // 0000000090CC: D3B0401E 1D20B11E
	v_exp_f32_e32 v28, v28                                     // 0000000090D4: 7E38411C
	v_exp_f32_e32 v29, v29                                     // 0000000090D8: 7E3A411D
	v_exp_f32_e32 v30, v30                                     // 0000000090DC: 7E3C411E
	v_exp_f32_e32 v31, v31                                     // 0000000090E0: 7E3E411F
	v_mul_f32_dpp v32, v69, v16 row_newbcast:0 row_mask:0xf bank_mask:0xf// 0000000090E4: 0A4020FA FF015045
	v_mul_f32_dpp v33, v69, v17 row_newbcast:1 row_mask:0xf bank_mask:0xf// 0000000090EC: 0A4222FA FF015145
	v_mul_f32_dpp v34, v69, v18 row_newbcast:2 row_mask:0xf bank_mask:0xf// 0000000090F4: 0A4424FA FF015245
	v_mul_f32_dpp v35, v69, v19 row_newbcast:3 row_mask:0xf bank_mask:0xf// 0000000090FC: 0A4626FA FF015345
	v_mul_f32_dpp v36, v69, v20 row_newbcast:4 row_mask:0xf bank_mask:0xf// 000000009104: 0A4828FA FF015445
	v_mul_f32_dpp v37, v69, v21 row_newbcast:5 row_mask:0xf bank_mask:0xf// 00000000910C: 0A4A2AFA FF015545
	v_mul_f32_dpp v38, v69, v22 row_newbcast:6 row_mask:0xf bank_mask:0xf// 000000009114: 0A4C2CFA FF015645
	v_mul_f32_dpp v39, v69, v23 row_newbcast:7 row_mask:0xf bank_mask:0xf// 00000000911C: 0A4E2EFA FF015745
	v_mul_f32_dpp v40, v69, v24 row_newbcast:8 row_mask:0xf bank_mask:0xf// 000000009124: 0A5030FA FF015845
	v_mul_f32_dpp v41, v69, v25 row_newbcast:9 row_mask:0xf bank_mask:0xf// 00000000912C: 0A5232FA FF015945
	v_mul_f32_dpp v42, v69, v26 row_newbcast:10 row_mask:0xf bank_mask:0xf// 000000009134: 0A5434FA FF015A45
	v_mul_f32_dpp v43, v69, v27 row_newbcast:11 row_mask:0xf bank_mask:0xf// 00000000913C: 0A5636FA FF015B45
	v_mul_f32_dpp v44, v69, v28 row_newbcast:12 row_mask:0xf bank_mask:0xf// 000000009144: 0A5838FA FF015C45
	v_mul_f32_dpp v45, v69, v29 row_newbcast:13 row_mask:0xf bank_mask:0xf// 00000000914C: 0A5A3AFA FF015D45
	v_mul_f32_dpp v46, v69, v30 row_newbcast:14 row_mask:0xf bank_mask:0xf// 000000009154: 0A5C3CFA FF015E45
	v_mul_f32_dpp v47, v69, v31 row_newbcast:15 row_mask:0xf bank_mask:0xf// 00000000915C: 0A5E3EFA FF015F45
	v_mov_b32_e32 v92, 0x358637bd                              // 000000009164: 7EB802FF 358637BD
	v_max3_f32 v92, |v32|, |v33|, v92                          // 00000000916C: D1D3035C 05724320
	v_max3_f32 v92, |v34|, |v35|, v92                          // 000000009174: D1D3035C 05724722
	v_max3_f32 v92, |v36|, |v37|, v92                          // 00000000917C: D1D3035C 05724B24
	v_max3_f32 v92, |v38|, |v39|, v92                          // 000000009184: D1D3035C 05724F26
	v_max3_f32 v92, |v40|, |v41|, v92                          // 00000000918C: D1D3035C 05725328
	v_max3_f32 v92, |v42|, |v43|, v92                          // 000000009194: D1D3035C 0572572A
	v_max3_f32 v92, |v44|, |v45|, v92                          // 00000000919C: D1D3035C 05725B2C
	v_max3_f32 v92, |v46|, |v47|, v92                          // 0000000091A4: D1D3035C 05725F2E
	ds_write_b32 v124, v92 offset:1280                         // 0000000091AC: D81A0500 00005C7C
	buffer_load_dword v66, v114, s[24:27], 0 offen             // 0000000091B4: E0501000 80064272
	v_sub_f32_e32 v94, v96, v97                                // 0000000091BC: 04BCC360
	v_cmp_eq_u32_e64 s[86:87], v105, v96                       // 0000000091C0: D0CA0056 0002C169
	s_nop 0                                                    // 0000000091C8: BF800000
	v_cndmask_b32_e64 v94, v94, 0, s[86:87]                    // 0000000091CC: D100005E 0159015E
	v_mov_b32_e32 v96, v97                                     // 0000000091D4: 7EC00361
	v_mul_f32_e32 v94, s58, v94                                // 0000000091D8: 0ABCBC3A
	v_exp_f32_e32 v94, v94                                     // 0000000091DC: 7EBC415E
	s_nop 0                                                    // 0000000091E0: BF800000
	v_mov_b32_e32 v95, v94                                     // 0000000091E4: 7EBE035E
	buffer_load_dword v68, v115, s[28:31], 0 offen             // 0000000091E8: E0501000 80074473
	s_waitcnt lgkmcnt(0)                                       // 0000000091F0: BF8CC07F
	s_barrier                                                  // 0000000091F4: BF8A0000
	ds_read_b32 v76, v125 offset:1280                          // 0000000091F8: D86C0500 4C00007D
	ds_read_b32 v77, v125 offset:1344                          // 000000009200: D86C0540 4D00007D
	ds_read_b32 v78, v125 offset:1408                          // 000000009208: D86C0580 4E00007D
	ds_read_b32 v79, v125 offset:1472                          // 000000009210: D86C05C0 4F00007D
	ds_read_b32 v80, v125 offset:1536                          // 000000009218: D86C0600 5000007D
	ds_read_b32 v81, v125 offset:1600                          // 000000009220: D86C0640 5100007D
	ds_read_b32 v82, v125 offset:1664                          // 000000009228: D86C0680 5200007D
	ds_read_b32 v83, v125 offset:1728                          // 000000009230: D86C06C0 5300007D
	ds_read_b32 v84, v125 offset:1792                          // 000000009238: D86C0700 5400007D
	ds_read_b32 v85, v125 offset:1856                          // 000000009240: D86C0740 5500007D
	ds_read_b32 v86, v125 offset:1920                          // 000000009248: D86C0780 5600007D
	ds_read_b32 v87, v125 offset:1984                          // 000000009250: D86C07C0 5700007D
	ds_read_b32 v88, v125 offset:2048                          // 000000009258: D86C0800 5800007D
	ds_read_b32 v89, v125 offset:2112                          // 000000009260: D86C0840 5900007D
	ds_read_b32 v90, v125 offset:2176                          // 000000009268: D86C0880 5A00007D
	ds_read_b32 v91, v125 offset:2240                          // 000000009270: D86C08C0 5B00007D
	buffer_load_dwordx4 a[64:67], v110, s[16:19], 0 offen      // 000000009278: E05C1000 8084406E
	v_mul_f32_e32 v98, v94, v98                                // 000000009280: 0AC4C55E
	v_add_f32_e32 v98, v16, v98                                // 000000009284: 02C4C510
	v_add_f32_e32 v98, v17, v98                                // 000000009288: 02C4C511
	v_add_f32_e32 v98, v18, v98                                // 00000000928C: 02C4C512
	v_add_f32_e32 v98, v19, v98                                // 000000009290: 02C4C513
	v_add_f32_e32 v98, v20, v98                                // 000000009294: 02C4C514
	v_add_f32_e32 v98, v21, v98                                // 000000009298: 02C4C515
	v_add_f32_e32 v98, v22, v98                                // 00000000929C: 02C4C516
	v_add_f32_e32 v98, v23, v98                                // 0000000092A0: 02C4C517
	v_add_f32_e32 v98, v24, v98                                // 0000000092A4: 02C4C518
	v_add_f32_e32 v98, v25, v98                                // 0000000092A8: 02C4C519
	v_add_f32_e32 v98, v26, v98                                // 0000000092AC: 02C4C51A
	v_add_f32_e32 v98, v27, v98                                // 0000000092B0: 02C4C51B
	v_add_f32_e32 v98, v28, v98                                // 0000000092B4: 02C4C51C
	v_add_f32_e32 v98, v29, v98                                // 0000000092B8: 02C4C51D
	v_add_f32_e32 v98, v30, v98                                // 0000000092BC: 02C4C51E
	v_add_f32_e32 v98, v31, v98                                // 0000000092C0: 02C4C51F
	buffer_load_dwordx4 a[68:71], v111, s[16:19], 0 offen      // 0000000092C4: E05C1000 8084446F
	s_waitcnt lgkmcnt(0)                                       // 0000000092CC: BF8CC07F
	v_max3_f32 v92, v76, v77, v92                              // 0000000092D0: D1D3005C 05729B4C
	v_max3_f32 v92, v78, v79, v92                              // 0000000092D8: D1D3005C 05729F4E
	v_max3_f32 v92, v80, v81, v92                              // 0000000092E0: D1D3005C 0572A350
	v_max3_f32 v92, v82, v83, v92                              // 0000000092E8: D1D3005C 0572A752
	v_max3_f32 v92, v84, v85, v92                              // 0000000092F0: D1D3005C 0572AB54
	v_max3_f32 v92, v86, v87, v92                              // 0000000092F8: D1D3005C 0572AF56
	v_max3_f32 v92, v88, v89, v92                              // 000000009300: D1D3005C 0572B358
	v_max3_f32 v92, v90, v91, v92                              // 000000009308: D1D3005C 0572B75A
	v_rcp_f32_e32 v92, v92                                     // 000000009310: 7EB8455C
	s_nop 0                                                    // 000000009314: BF800000
	v_mul_f32_e32 v92, 0x43700000, v92                         // 000000009318: 0AB8B8FF 43700000
	v_mov_b32_e32 v93, v92                                     // 000000009320: 7EBA035C
	v_pk_mul_f32 v[16:17], v[92:93], v[32:33]                  // 000000009324: D3B14010 1802415C
	v_pk_mul_f32 v[18:19], v[92:93], v[34:35]                  // 00000000932C: D3B14012 1802455C
	v_pk_mul_f32 v[20:21], v[92:93], v[36:37]                  // 000000009334: D3B14014 1802495C
	v_pk_mul_f32 v[22:23], v[92:93], v[38:39]                  // 00000000933C: D3B14016 18024D5C
	v_pk_mul_f32 v[24:25], v[92:93], v[40:41]                  // 000000009344: D3B14018 1802515C
	v_pk_mul_f32 v[26:27], v[92:93], v[42:43]                  // 00000000934C: D3B1401A 1802555C
	v_pk_mul_f32 v[28:29], v[92:93], v[44:45]                  // 000000009354: D3B1401C 1802595C
	v_pk_mul_f32 v[30:31], v[92:93], v[46:47]                  // 00000000935C: D3B1401E 18025D5C
	v_cvt_pk_fp8_f32 v16, v16, v17                             // 000000009364: D2A20010 00022310
	v_cvt_pk_fp8_f32 v16, v18, v19 op_sel:[0,0,1]              // 00000000936C: D2A24010 00022712
	v_cvt_pk_fp8_f32 v17, v20, v21                             // 000000009374: D2A20011 00022B14
	v_cvt_pk_fp8_f32 v17, v22, v23 op_sel:[0,0,1]              // 00000000937C: D2A24011 00022F16
	v_cvt_pk_fp8_f32 v18, v24, v25                             // 000000009384: D2A20012 00023318
	v_cvt_pk_fp8_f32 v18, v26, v27 op_sel:[0,0,1]              // 00000000938C: D2A24012 0002371A
	v_cvt_pk_fp8_f32 v19, v28, v29                             // 000000009394: D2A20013 00023B1C
	v_cvt_pk_fp8_f32 v19, v30, v31 op_sel:[0,0,1]              // 00000000939C: D2A24013 00023F1E
	ds_write_b32 v126, v16 offset:2560                         // 0000000093A4: D81A0A00 0000107E
	ds_write_b32 v126, v17 offset:3584                         // 0000000093AC: D81A0E00 0000117E
	ds_write_b32 v126, v18 offset:4608                         // 0000000093B4: D81A1200 0000127E
	ds_write_b32 v126, v19 offset:5632                         // 0000000093BC: D81A1600 0000137E
	v_rcp_f32_e32 v70, v92                                     // 0000000093C4: 7E8C455C
	s_nop 0                                                    // 0000000093C8: BF800000
	v_mov_b32_e32 v71, v70                                     // 0000000093CC: 7E8E0346
	buffer_load_dwordx4 a[72:75], v112, s[16:19], 0 offen      // 0000000093D0: E05C1000 80844870
	v_pk_add_f32 v[56:57], v[56:57], v[48:49]                  // 0000000093D8: D3B24038 18026138
	v_pk_add_f32 v[58:59], v[58:59], v[50:51]                  // 0000000093E0: D3B2403A 1802653A
	v_pk_add_f32 v[60:61], v[60:61], v[52:53]                  // 0000000093E8: D3B2403C 1802693C
	v_pk_add_f32 v[62:63], v[62:63], v[54:55]                  // 0000000093F0: D3B2403E 18026D3E
	s_waitcnt lgkmcnt(0)                                       // 0000000093F8: BF8CC07F
	s_barrier                                                  // 0000000093FC: BF8A0000
	ds_read_b128 v[16:19], v127 offset:2560                    // 000000009400: D9FE0A00 1000007F
	ds_read_b128 v[20:23], v127 offset:3584                    // 000000009408: D9FE0E00 1400007F
	ds_read_b128 v[24:27], v127 offset:4608                    // 000000009410: D9FE1200 1800007F
	ds_read_b128 v[28:31], v127 offset:5632                    // 000000009418: D9FE1600 1C00007F
	buffer_load_dwordx4 a[76:79], v113, s[16:19], 0 offen      // 000000009420: E05C1000 80844C71
	s_waitcnt vmcnt(14)                                        // 000000009428: BF8C0F7E
	s_waitcnt lgkmcnt(3)                                       // 00000000942C: BF8CC37F
	v_mfma_f32_16x16x32_fp8_fp8 v[48:51], a[96:97], v[16:17], 0// 000000009430: D3F30030 0A022160
	v_mfma_f32_16x16x32_fp8_fp8 v[52:55], a[112:113], v[16:17], 0// 000000009438: D3F30034 0A022170
	v_mfma_f32_16x16x32_fp8_fp8 v[48:51], a[98:99], v[18:19], v[48:51]// 000000009440: D3F30030 0CC22562
	v_mfma_f32_16x16x32_fp8_fp8 v[52:55], a[114:115], v[18:19], v[52:55]// 000000009448: D3F30034 0CD22572
	buffer_load_dwordx4 a[80:83], v110, s[16:19], 0 offen offset:1024// 000000009450: E05C1400 8084506E
	s_waitcnt lgkmcnt(2)                                       // 000000009458: BF8CC27F
	v_mfma_f32_16x16x32_fp8_fp8 v[48:51], a[100:101], v[20:21], v[48:51]// 00000000945C: D3F30030 0CC22964
	v_mfma_f32_16x16x32_fp8_fp8 v[52:55], a[116:117], v[20:21], v[52:55]// 000000009464: D3F30034 0CD22974
	v_mfma_f32_16x16x32_fp8_fp8 v[48:51], a[102:103], v[22:23], v[48:51]// 00000000946C: D3F30030 0CC22D66
	v_mfma_f32_16x16x32_fp8_fp8 v[52:55], a[118:119], v[22:23], v[52:55]// 000000009474: D3F30034 0CD22D76
	buffer_load_dwordx4 a[84:87], v111, s[16:19], 0 offen offset:1024// 00000000947C: E05C1400 8084546F
	s_waitcnt lgkmcnt(1)                                       // 000000009484: BF8CC17F
	v_mfma_f32_16x16x32_fp8_fp8 v[48:51], a[104:105], v[24:25], v[48:51]// 000000009488: D3F30030 0CC23168
	v_mfma_f32_16x16x32_fp8_fp8 v[52:55], a[120:121], v[24:25], v[52:55]// 000000009490: D3F30034 0CD23178
	v_mfma_f32_16x16x32_fp8_fp8 v[48:51], a[106:107], v[26:27], v[48:51]// 000000009498: D3F30030 0CC2356A
	v_mfma_f32_16x16x32_fp8_fp8 v[52:55], a[122:123], v[26:27], v[52:55]// 0000000094A0: D3F30034 0CD2357A
	buffer_load_dwordx4 a[88:91], v112, s[16:19], 0 offen offset:1024// 0000000094A8: E05C1400 80845870
	s_waitcnt lgkmcnt(0)                                       // 0000000094B0: BF8CC07F
	v_mfma_f32_16x16x32_fp8_fp8 v[48:51], a[108:109], v[28:29], v[48:51]// 0000000094B4: D3F30030 0CC2396C
	v_mfma_f32_16x16x32_fp8_fp8 v[52:55], a[124:125], v[28:29], v[52:55]// 0000000094BC: D3F30034 0CD2397C
	v_mfma_f32_16x16x32_fp8_fp8 v[48:51], a[110:111], v[30:31], v[48:51]// 0000000094C4: D3F30030 0CC23D6E
	v_mfma_f32_16x16x32_fp8_fp8 v[52:55], a[126:127], v[30:31], v[52:55]// 0000000094CC: D3F30034 0CD23D7E
	buffer_load_dwordx4 a[92:95], v113, s[16:19], 0 offen offset:1024// 0000000094D4: E05C1400 80845C71
	s_addk_i32 s56, 0x100                                      // 0000000094DC: B7380100
	s_branch label_1B79                                        // 0000000094E0: BF820000

00000000000094e4 <label_1B79>:
	s_waitcnt vmcnt(10)                                        // 0000000094E4: BF8C0F7A
	v_mfma_f32_16x16x32_fp8_fp8 v[16:19], a[0:1], v[8:9], 0    // 0000000094E8: D3F30010 0A021100
	v_mfma_f32_16x16x32_fp8_fp8 v[16:19], a[2:3], v[10:11], v[16:19]// 0000000094F0: D3F30010 0C421502
	v_mfma_f32_16x16x32_fp8_fp8 v[16:19], a[4:5], v[12:13], v[16:19]// 0000000094F8: D3F30010 0C421904
	v_mfma_f32_16x16x32_fp8_fp8 v[16:19], a[6:7], v[14:15], v[16:19]// 000000009500: D3F30010 0C421D06
	v_mfma_f32_16x16x32_fp8_fp8 v[20:23], a[8:9], v[8:9], 0    // 000000009508: D3F30014 0A021108
	v_mfma_f32_16x16x32_fp8_fp8 v[20:23], a[10:11], v[10:11], v[20:23]// 000000009510: D3F30014 0C52150A
	v_mfma_f32_16x16x32_fp8_fp8 v[20:23], a[12:13], v[12:13], v[20:23]// 000000009518: D3F30014 0C52190C
	v_mfma_f32_16x16x32_fp8_fp8 v[20:23], a[14:15], v[14:15], v[20:23]// 000000009520: D3F30014 0C521D0E
	v_mfma_f32_16x16x32_fp8_fp8 v[24:27], a[16:17], v[8:9], 0  // 000000009528: D3F30018 0A021110
	v_mfma_f32_16x16x32_fp8_fp8 v[24:27], a[18:19], v[10:11], v[24:27]// 000000009530: D3F30018 0C621512
	v_mfma_f32_16x16x32_fp8_fp8 v[24:27], a[20:21], v[12:13], v[24:27]// 000000009538: D3F30018 0C621914
	v_mfma_f32_16x16x32_fp8_fp8 v[24:27], a[22:23], v[14:15], v[24:27]// 000000009540: D3F30018 0C621D16
	v_mfma_f32_16x16x32_fp8_fp8 v[28:31], a[24:25], v[8:9], 0  // 000000009548: D3F3001C 0A021118
	v_mfma_f32_16x16x32_fp8_fp8 v[28:31], a[26:27], v[10:11], v[28:31]// 000000009550: D3F3001C 0C72151A
	v_mfma_f32_16x16x32_fp8_fp8 v[28:31], a[28:29], v[12:13], v[28:31]// 000000009558: D3F3001C 0C72191C
	v_mfma_f32_16x16x32_fp8_fp8 v[28:31], a[30:31], v[14:15], v[28:31]// 000000009560: D3F3001C 0C721D1E
	s_waitcnt vmcnt(8)                                         // 000000009568: BF8C0F78
	v_pk_mul_f32 v[16:17], v[64:65], v[16:17]                  // 00000000956C: D3B14010 18022140
	v_pk_mul_f32 v[18:19], v[64:65], v[18:19]                  // 000000009574: D3B14012 18022540
	v_mul_f32_dpp v16, v66, v16 row_newbcast:0 row_mask:0xf bank_mask:0xf// 00000000957C: 0A2020FA FF015042
	v_mul_f32_dpp v17, v66, v17 row_newbcast:1 row_mask:0xf bank_mask:0xf// 000000009584: 0A2222FA FF015142
	v_mul_f32_dpp v18, v66, v18 row_newbcast:2 row_mask:0xf bank_mask:0xf// 00000000958C: 0A2424FA FF015242
	v_mul_f32_dpp v19, v66, v19 row_newbcast:3 row_mask:0xf bank_mask:0xf// 000000009594: 0A2626FA FF015342
	v_pk_mul_f32 v[20:21], v[64:65], v[20:21]                  // 00000000959C: D3B14014 18022940
	v_pk_mul_f32 v[22:23], v[64:65], v[22:23]                  // 0000000095A4: D3B14016 18022D40
	v_mul_f32_dpp v20, v66, v20 row_newbcast:4 row_mask:0xf bank_mask:0xf// 0000000095AC: 0A2828FA FF015442
	v_mul_f32_dpp v21, v66, v21 row_newbcast:5 row_mask:0xf bank_mask:0xf// 0000000095B4: 0A2A2AFA FF015542
	v_mul_f32_dpp v22, v66, v22 row_newbcast:6 row_mask:0xf bank_mask:0xf// 0000000095BC: 0A2C2CFA FF015642
	v_mul_f32_dpp v23, v66, v23 row_newbcast:7 row_mask:0xf bank_mask:0xf// 0000000095C4: 0A2E2EFA FF015742
	v_pk_mul_f32 v[24:25], v[64:65], v[24:25]                  // 0000000095CC: D3B14018 18023140
	v_pk_mul_f32 v[26:27], v[64:65], v[26:27]                  // 0000000095D4: D3B1401A 18023540
	v_mul_f32_dpp v24, v66, v24 row_newbcast:8 row_mask:0xf bank_mask:0xf// 0000000095DC: 0A3030FA FF015842
	v_mul_f32_dpp v25, v66, v25 row_newbcast:9 row_mask:0xf bank_mask:0xf// 0000000095E4: 0A3232FA FF015942
	v_mul_f32_dpp v26, v66, v26 row_newbcast:10 row_mask:0xf bank_mask:0xf// 0000000095EC: 0A3434FA FF015A42
	v_mul_f32_dpp v27, v66, v27 row_newbcast:11 row_mask:0xf bank_mask:0xf// 0000000095F4: 0A3636FA FF015B42
	v_pk_mul_f32 v[28:29], v[64:65], v[28:29]                  // 0000000095FC: D3B1401C 18023940
	v_pk_mul_f32 v[30:31], v[64:65], v[30:31]                  // 000000009604: D3B1401E 18023D40
	v_mul_f32_dpp v28, v66, v28 row_newbcast:12 row_mask:0xf bank_mask:0xf// 00000000960C: 0A3838FA FF015C42
	v_mul_f32_dpp v29, v66, v29 row_newbcast:13 row_mask:0xf bank_mask:0xf// 000000009614: 0A3A3AFA FF015D42
	v_mul_f32_dpp v30, v66, v30 row_newbcast:14 row_mask:0xf bank_mask:0xf// 00000000961C: 0A3C3CFA FF015E42
	v_mul_f32_dpp v31, v66, v31 row_newbcast:15 row_mask:0xf bank_mask:0xf// 000000009624: 0A3E3EFA FF015F42
	v_add_u32_e32 v72, s56, v104                               // 00000000962C: 6890D038
	v_add_u32_e32 v73, 0, v72                                  // 000000009630: 68929080
	v_cmp_lt_u32_e64 s[86:87], v73, v103                       // 000000009634: D0C90056 0002CF49
	s_nop 0                                                    // 00000000963C: BF800000
	v_cndmask_b32_e64 v16, v105, v16, s[86:87]                 // 000000009640: D1000010 015A2169
	v_add_u32_e32 v73, 1, v72                                  // 000000009648: 68929081
	v_cmp_lt_u32_e64 s[86:87], v73, v103                       // 00000000964C: D0C90056 0002CF49
	s_nop 0                                                    // 000000009654: BF800000
	v_cndmask_b32_e64 v17, v105, v17, s[86:87]                 // 000000009658: D1000011 015A2369
	v_add_u32_e32 v73, 2, v72                                  // 000000009660: 68929082
	v_cmp_lt_u32_e64 s[86:87], v73, v103                       // 000000009664: D0C90056 0002CF49
	s_nop 0                                                    // 00000000966C: BF800000
	v_cndmask_b32_e64 v18, v105, v18, s[86:87]                 // 000000009670: D1000012 015A2569
	v_add_u32_e32 v73, 3, v72                                  // 000000009678: 68929083
	v_cmp_lt_u32_e64 s[86:87], v73, v103                       // 00000000967C: D0C90056 0002CF49
	s_nop 0                                                    // 000000009684: BF800000
	v_cndmask_b32_e64 v19, v105, v19, s[86:87]                 // 000000009688: D1000013 015A2769
	v_add_u32_e32 v73, 64, v72                                 // 000000009690: 689290C0
	v_cmp_lt_u32_e64 s[86:87], v73, v103                       // 000000009694: D0C90056 0002CF49
	s_nop 0                                                    // 00000000969C: BF800000
	v_cndmask_b32_e64 v20, v105, v20, s[86:87]                 // 0000000096A0: D1000014 015A2969
	v_add_u32_e32 v73, 0x41, v72                               // 0000000096A8: 689290FF 00000041
	v_cmp_lt_u32_e64 s[86:87], v73, v103                       // 0000000096B0: D0C90056 0002CF49
	s_nop 0                                                    // 0000000096B8: BF800000
	v_cndmask_b32_e64 v21, v105, v21, s[86:87]                 // 0000000096BC: D1000015 015A2B69
	v_add_u32_e32 v73, 0x42, v72                               // 0000000096C4: 689290FF 00000042
	v_cmp_lt_u32_e64 s[86:87], v73, v103                       // 0000000096CC: D0C90056 0002CF49
	s_nop 0                                                    // 0000000096D4: BF800000
	v_cndmask_b32_e64 v22, v105, v22, s[86:87]                 // 0000000096D8: D1000016 015A2D69
	v_add_u32_e32 v73, 0x43, v72                               // 0000000096E0: 689290FF 00000043
	v_cmp_lt_u32_e64 s[86:87], v73, v103                       // 0000000096E8: D0C90056 0002CF49
	s_nop 0                                                    // 0000000096F0: BF800000
	v_cndmask_b32_e64 v23, v105, v23, s[86:87]                 // 0000000096F4: D1000017 015A2F69
	v_add_u32_e32 v73, 0x80, v72                               // 0000000096FC: 689290FF 00000080
	v_cmp_lt_u32_e64 s[86:87], v73, v103                       // 000000009704: D0C90056 0002CF49
	s_nop 0                                                    // 00000000970C: BF800000
	v_cndmask_b32_e64 v24, v105, v24, s[86:87]                 // 000000009710: D1000018 015A3169
	v_add_u32_e32 v73, 0x81, v72                               // 000000009718: 689290FF 00000081
	v_cmp_lt_u32_e64 s[86:87], v73, v103                       // 000000009720: D0C90056 0002CF49
	s_nop 0                                                    // 000000009728: BF800000
	v_cndmask_b32_e64 v25, v105, v25, s[86:87]                 // 00000000972C: D1000019 015A3369
	v_add_u32_e32 v73, 0x82, v72                               // 000000009734: 689290FF 00000082
	v_cmp_lt_u32_e64 s[86:87], v73, v103                       // 00000000973C: D0C90056 0002CF49
	s_nop 0                                                    // 000000009744: BF800000
	v_cndmask_b32_e64 v26, v105, v26, s[86:87]                 // 000000009748: D100001A 015A3569
	v_add_u32_e32 v73, 0x83, v72                               // 000000009750: 689290FF 00000083
	v_cmp_lt_u32_e64 s[86:87], v73, v103                       // 000000009758: D0C90056 0002CF49
	s_nop 0                                                    // 000000009760: BF800000
	v_cndmask_b32_e64 v27, v105, v27, s[86:87]                 // 000000009764: D100001B 015A3769
	v_add_u32_e32 v73, 0xc0, v72                               // 00000000976C: 689290FF 000000C0
	v_cmp_lt_u32_e64 s[86:87], v73, v103                       // 000000009774: D0C90056 0002CF49
	s_nop 0                                                    // 00000000977C: BF800000
	v_cndmask_b32_e64 v28, v105, v28, s[86:87]                 // 000000009780: D100001C 015A3969
	v_add_u32_e32 v73, 0xc1, v72                               // 000000009788: 689290FF 000000C1
	v_cmp_lt_u32_e64 s[86:87], v73, v103                       // 000000009790: D0C90056 0002CF49
	s_nop 0                                                    // 000000009798: BF800000
	v_cndmask_b32_e64 v29, v105, v29, s[86:87]                 // 00000000979C: D100001D 015A3B69
	v_add_u32_e32 v73, 0xc2, v72                               // 0000000097A4: 689290FF 000000C2
	v_cmp_lt_u32_e64 s[86:87], v73, v103                       // 0000000097AC: D0C90056 0002CF49
	s_nop 0                                                    // 0000000097B4: BF800000
	v_cndmask_b32_e64 v30, v105, v30, s[86:87]                 // 0000000097B8: D100001E 015A3D69
	v_add_u32_e32 v73, 0xc3, v72                               // 0000000097C0: 689290FF 000000C3
	v_cmp_lt_u32_e64 s[86:87], v73, v103                       // 0000000097C8: D0C90056 0002CF49
	s_nop 0                                                    // 0000000097D0: BF800000
	v_cndmask_b32_e64 v31, v105, v31, s[86:87]                 // 0000000097D4: D100001F 015A3F69
	v_mov_b32_e32 v92, v16                                     // 0000000097DC: 7EB80310
	v_max3_f32 v92, v16, v17, v92                              // 0000000097E0: D1D3005C 05722310
	v_max3_f32 v92, v18, v19, v92                              // 0000000097E8: D1D3005C 05722712
	v_max3_f32 v92, v20, v21, v92                              // 0000000097F0: D1D3005C 05722B14
	v_max3_f32 v92, v22, v23, v92                              // 0000000097F8: D1D3005C 05722F16
	v_max3_f32 v92, v24, v25, v92                              // 000000009800: D1D3005C 05723318
	v_max3_f32 v92, v26, v27, v92                              // 000000009808: D1D3005C 0572371A
	v_max3_f32 v92, v28, v29, v92                              // 000000009810: D1D3005C 05723B1C
	v_max3_f32 v92, v30, v31, v92                              // 000000009818: D1D3005C 05723F1E
	ds_write_b32 v124, v92                                     // 000000009820: D81A0000 00005C7C
	v_pk_mul_f32 v[56:57], v[94:95], v[56:57]                  // 000000009828: D3B14038 1802715E
	v_pk_mul_f32 v[58:59], v[94:95], v[58:59]                  // 000000009830: D3B1403A 1802755E
	v_pk_mul_f32 v[60:61], v[94:95], v[60:61]                  // 000000009838: D3B1403C 1802795E
	v_pk_mul_f32 v[62:63], v[94:95], v[62:63]                  // 000000009840: D3B1403E 18027D5E
	s_waitcnt lgkmcnt(0)                                       // 000000009848: BF8CC07F
	s_barrier                                                  // 00000000984C: BF8A0000
	ds_read_b32 v76, v125                                      // 000000009850: D86C0000 4C00007D
	ds_read_b32 v77, v125 offset:64                            // 000000009858: D86C0040 4D00007D
	ds_read_b32 v78, v125 offset:128                           // 000000009860: D86C0080 4E00007D
	ds_read_b32 v79, v125 offset:192                           // 000000009868: D86C00C0 4F00007D
	ds_read_b32 v80, v125 offset:256                           // 000000009870: D86C0100 5000007D
	ds_read_b32 v81, v125 offset:320                           // 000000009878: D86C0140 5100007D
	ds_read_b32 v82, v125 offset:384                           // 000000009880: D86C0180 5200007D
	ds_read_b32 v83, v125 offset:448                           // 000000009888: D86C01C0 5300007D
	ds_read_b32 v84, v125 offset:512                           // 000000009890: D86C0200 5400007D
	ds_read_b32 v85, v125 offset:576                           // 000000009898: D86C0240 5500007D
	ds_read_b32 v86, v125 offset:640                           // 0000000098A0: D86C0280 5600007D
	ds_read_b32 v87, v125 offset:704                           // 0000000098A8: D86C02C0 5700007D
	ds_read_b32 v88, v125 offset:768                           // 0000000098B0: D86C0300 5800007D
	ds_read_b32 v89, v125 offset:832                           // 0000000098B8: D86C0340 5900007D
	ds_read_b32 v90, v125 offset:896                           // 0000000098C0: D86C0380 5A00007D
	ds_read_b32 v91, v125 offset:960                           // 0000000098C8: D86C03C0 5B00007D
	v_pk_mul_f32 v[48:49], v[70:71], v[48:49]                  // 0000000098D0: D3B14030 18026146
	v_pk_mul_f32 v[50:51], v[70:71], v[50:51]                  // 0000000098D8: D3B14032 18026546
	v_pk_mul_f32 v[52:53], v[70:71], v[52:53]                  // 0000000098E0: D3B14034 18026946
	v_pk_mul_f32 v[54:55], v[70:71], v[54:55]                  // 0000000098E8: D3B14036 18026D46
	s_waitcnt lgkmcnt(0)                                       // 0000000098F0: BF8CC07F
	v_max3_f32 v92, v76, v77, v92                              // 0000000098F4: D1D3005C 05729B4C
	v_max3_f32 v92, v78, v79, v92                              // 0000000098FC: D1D3005C 05729F4E
	v_max3_f32 v92, v80, v81, v92                              // 000000009904: D1D3005C 0572A350
	v_max3_f32 v92, v82, v83, v92                              // 00000000990C: D1D3005C 0572A752
	v_max3_f32 v92, v84, v85, v92                              // 000000009914: D1D3005C 0572AB54
	v_max3_f32 v92, v86, v87, v92                              // 00000000991C: D1D3005C 0572AF56
	v_max3_f32 v92, v88, v89, v92                              // 000000009924: D1D3005C 0572B358
	v_max3_f32 v92, v90, v91, v92                              // 00000000992C: D1D3005C 0572B75A
	v_max_f32_e32 v97, v92, v96                                // 000000009934: 16C2C15C
	v_mul_f32_e64 v72, -s58, v97                               // 000000009938: D1050048 2002C23A
	v_mov_b32_e32 v73, v72                                     // 000000009940: 7E920348
	v_pk_fma_f32 v[16:17], v[16:17], s[88:89], v[72:73]        // 000000009944: D3B04010 1D20B110
	v_pk_fma_f32 v[18:19], v[18:19], s[88:89], v[72:73]        // 00000000994C: D3B04012 1D20B112
	v_exp_f32_e32 v16, v16                                     // 000000009954: 7E204110
	v_exp_f32_e32 v17, v17                                     // 000000009958: 7E224111
	v_exp_f32_e32 v18, v18                                     // 00000000995C: 7E244112
	v_exp_f32_e32 v19, v19                                     // 000000009960: 7E264113
	v_pk_fma_f32 v[20:21], v[20:21], s[88:89], v[72:73]        // 000000009964: D3B04014 1D20B114
	v_pk_fma_f32 v[22:23], v[22:23], s[88:89], v[72:73]        // 00000000996C: D3B04016 1D20B116
	v_exp_f32_e32 v20, v20                                     // 000000009974: 7E284114
	v_exp_f32_e32 v21, v21                                     // 000000009978: 7E2A4115
	v_exp_f32_e32 v22, v22                                     // 00000000997C: 7E2C4116
	v_exp_f32_e32 v23, v23                                     // 000000009980: 7E2E4117
	v_pk_fma_f32 v[24:25], v[24:25], s[88:89], v[72:73]        // 000000009984: D3B04018 1D20B118
	v_pk_fma_f32 v[26:27], v[26:27], s[88:89], v[72:73]        // 00000000998C: D3B0401A 1D20B11A
	v_exp_f32_e32 v24, v24                                     // 000000009994: 7E304118
	v_exp_f32_e32 v25, v25                                     // 000000009998: 7E324119
	v_exp_f32_e32 v26, v26                                     // 00000000999C: 7E34411A
	v_exp_f32_e32 v27, v27                                     // 0000000099A0: 7E36411B
	v_pk_fma_f32 v[28:29], v[28:29], s[88:89], v[72:73]        // 0000000099A4: D3B0401C 1D20B11C
	v_pk_fma_f32 v[30:31], v[30:31], s[88:89], v[72:73]        // 0000000099AC: D3B0401E 1D20B11E
	v_exp_f32_e32 v28, v28                                     // 0000000099B4: 7E38411C
	v_exp_f32_e32 v29, v29                                     // 0000000099B8: 7E3A411D
	v_exp_f32_e32 v30, v30                                     // 0000000099BC: 7E3C411E
	v_exp_f32_e32 v31, v31                                     // 0000000099C0: 7E3E411F
	v_mul_f32_dpp v32, v68, v16 row_newbcast:0 row_mask:0xf bank_mask:0xf// 0000000099C4: 0A4020FA FF015044
	v_mul_f32_dpp v33, v68, v17 row_newbcast:1 row_mask:0xf bank_mask:0xf// 0000000099CC: 0A4222FA FF015144
	v_mul_f32_dpp v34, v68, v18 row_newbcast:2 row_mask:0xf bank_mask:0xf// 0000000099D4: 0A4424FA FF015244
	v_mul_f32_dpp v35, v68, v19 row_newbcast:3 row_mask:0xf bank_mask:0xf// 0000000099DC: 0A4626FA FF015344
	v_mul_f32_dpp v36, v68, v20 row_newbcast:4 row_mask:0xf bank_mask:0xf// 0000000099E4: 0A4828FA FF015444
	v_mul_f32_dpp v37, v68, v21 row_newbcast:5 row_mask:0xf bank_mask:0xf// 0000000099EC: 0A4A2AFA FF015544
	v_mul_f32_dpp v38, v68, v22 row_newbcast:6 row_mask:0xf bank_mask:0xf// 0000000099F4: 0A4C2CFA FF015644
	v_mul_f32_dpp v39, v68, v23 row_newbcast:7 row_mask:0xf bank_mask:0xf// 0000000099FC: 0A4E2EFA FF015744
	v_mul_f32_dpp v40, v68, v24 row_newbcast:8 row_mask:0xf bank_mask:0xf// 000000009A04: 0A5030FA FF015844
	v_mul_f32_dpp v41, v68, v25 row_newbcast:9 row_mask:0xf bank_mask:0xf// 000000009A0C: 0A5232FA FF015944
	v_mul_f32_dpp v42, v68, v26 row_newbcast:10 row_mask:0xf bank_mask:0xf// 000000009A14: 0A5434FA FF015A44
	v_mul_f32_dpp v43, v68, v27 row_newbcast:11 row_mask:0xf bank_mask:0xf// 000000009A1C: 0A5636FA FF015B44
	v_mul_f32_dpp v44, v68, v28 row_newbcast:12 row_mask:0xf bank_mask:0xf// 000000009A24: 0A5838FA FF015C44
	v_mul_f32_dpp v45, v68, v29 row_newbcast:13 row_mask:0xf bank_mask:0xf// 000000009A2C: 0A5A3AFA FF015D44
	v_mul_f32_dpp v46, v68, v30 row_newbcast:14 row_mask:0xf bank_mask:0xf// 000000009A34: 0A5C3CFA FF015E44
	v_mul_f32_dpp v47, v68, v31 row_newbcast:15 row_mask:0xf bank_mask:0xf// 000000009A3C: 0A5E3EFA FF015F44
	v_mov_b32_e32 v92, 0x358637bd                              // 000000009A44: 7EB802FF 358637BD
	v_max3_f32 v92, |v32|, |v33|, v92                          // 000000009A4C: D1D3035C 05724320
	v_max3_f32 v92, |v34|, |v35|, v92                          // 000000009A54: D1D3035C 05724722
	v_max3_f32 v92, |v36|, |v37|, v92                          // 000000009A5C: D1D3035C 05724B24
	v_max3_f32 v92, |v38|, |v39|, v92                          // 000000009A64: D1D3035C 05724F26
	v_max3_f32 v92, |v40|, |v41|, v92                          // 000000009A6C: D1D3035C 05725328
	v_max3_f32 v92, |v42|, |v43|, v92                          // 000000009A74: D1D3035C 0572572A
	v_max3_f32 v92, |v44|, |v45|, v92                          // 000000009A7C: D1D3035C 05725B2C
	v_max3_f32 v92, |v46|, |v47|, v92                          // 000000009A84: D1D3035C 05725F2E
	ds_write_b32 v124, v92 offset:1280                         // 000000009A8C: D81A0500 00005C7C
	v_sub_f32_e32 v94, v96, v97                                // 000000009A94: 04BCC360
	v_cmp_eq_u32_e64 s[86:87], v105, v96                       // 000000009A98: D0CA0056 0002C169
	s_nop 0                                                    // 000000009AA0: BF800000
	v_cndmask_b32_e64 v94, v94, 0, s[86:87]                    // 000000009AA4: D100005E 0159015E
	v_mov_b32_e32 v96, v97                                     // 000000009AAC: 7EC00361
	v_mul_f32_e32 v94, s58, v94                                // 000000009AB0: 0ABCBC3A
	v_exp_f32_e32 v94, v94                                     // 000000009AB4: 7EBC415E
	s_nop 0                                                    // 000000009AB8: BF800000
	v_mov_b32_e32 v95, v94                                     // 000000009ABC: 7EBE035E
	s_waitcnt lgkmcnt(0)                                       // 000000009AC0: BF8CC07F
	s_barrier                                                  // 000000009AC4: BF8A0000
	ds_read_b32 v76, v125 offset:1280                          // 000000009AC8: D86C0500 4C00007D
	ds_read_b32 v77, v125 offset:1344                          // 000000009AD0: D86C0540 4D00007D
	ds_read_b32 v78, v125 offset:1408                          // 000000009AD8: D86C0580 4E00007D
	ds_read_b32 v79, v125 offset:1472                          // 000000009AE0: D86C05C0 4F00007D
	ds_read_b32 v80, v125 offset:1536                          // 000000009AE8: D86C0600 5000007D
	ds_read_b32 v81, v125 offset:1600                          // 000000009AF0: D86C0640 5100007D
	ds_read_b32 v82, v125 offset:1664                          // 000000009AF8: D86C0680 5200007D
	ds_read_b32 v83, v125 offset:1728                          // 000000009B00: D86C06C0 5300007D
	ds_read_b32 v84, v125 offset:1792                          // 000000009B08: D86C0700 5400007D
	ds_read_b32 v85, v125 offset:1856                          // 000000009B10: D86C0740 5500007D
	ds_read_b32 v86, v125 offset:1920                          // 000000009B18: D86C0780 5600007D
	ds_read_b32 v87, v125 offset:1984                          // 000000009B20: D86C07C0 5700007D
	ds_read_b32 v88, v125 offset:2048                          // 000000009B28: D86C0800 5800007D
	ds_read_b32 v89, v125 offset:2112                          // 000000009B30: D86C0840 5900007D
	ds_read_b32 v90, v125 offset:2176                          // 000000009B38: D86C0880 5A00007D
	ds_read_b32 v91, v125 offset:2240                          // 000000009B40: D86C08C0 5B00007D
	v_mul_f32_e32 v98, v94, v98                                // 000000009B48: 0AC4C55E
	v_add_f32_e32 v98, v16, v98                                // 000000009B4C: 02C4C510
	v_add_f32_e32 v98, v17, v98                                // 000000009B50: 02C4C511
	v_add_f32_e32 v98, v18, v98                                // 000000009B54: 02C4C512
	v_add_f32_e32 v98, v19, v98                                // 000000009B58: 02C4C513
	v_add_f32_e32 v98, v20, v98                                // 000000009B5C: 02C4C514
	v_add_f32_e32 v98, v21, v98                                // 000000009B60: 02C4C515
	v_add_f32_e32 v98, v22, v98                                // 000000009B64: 02C4C516
	v_add_f32_e32 v98, v23, v98                                // 000000009B68: 02C4C517
	v_add_f32_e32 v98, v24, v98                                // 000000009B6C: 02C4C518
	v_add_f32_e32 v98, v25, v98                                // 000000009B70: 02C4C519
	v_add_f32_e32 v98, v26, v98                                // 000000009B74: 02C4C51A
	v_add_f32_e32 v98, v27, v98                                // 000000009B78: 02C4C51B
	v_add_f32_e32 v98, v28, v98                                // 000000009B7C: 02C4C51C
	v_add_f32_e32 v98, v29, v98                                // 000000009B80: 02C4C51D
	v_add_f32_e32 v98, v30, v98                                // 000000009B84: 02C4C51E
	v_add_f32_e32 v98, v31, v98                                // 000000009B88: 02C4C51F
	s_waitcnt lgkmcnt(0)                                       // 000000009B8C: BF8CC07F
	v_max3_f32 v92, v76, v77, v92                              // 000000009B90: D1D3005C 05729B4C
	v_max3_f32 v92, v78, v79, v92                              // 000000009B98: D1D3005C 05729F4E
	v_max3_f32 v92, v80, v81, v92                              // 000000009BA0: D1D3005C 0572A350
	v_max3_f32 v92, v82, v83, v92                              // 000000009BA8: D1D3005C 0572A752
	v_max3_f32 v92, v84, v85, v92                              // 000000009BB0: D1D3005C 0572AB54
	v_max3_f32 v92, v86, v87, v92                              // 000000009BB8: D1D3005C 0572AF56
	v_max3_f32 v92, v88, v89, v92                              // 000000009BC0: D1D3005C 0572B358
	v_max3_f32 v92, v90, v91, v92                              // 000000009BC8: D1D3005C 0572B75A
	v_rcp_f32_e32 v92, v92                                     // 000000009BD0: 7EB8455C
	s_nop 0                                                    // 000000009BD4: BF800000
	v_mul_f32_e32 v92, 0x43700000, v92                         // 000000009BD8: 0AB8B8FF 43700000
	v_mov_b32_e32 v93, v92                                     // 000000009BE0: 7EBA035C
	v_pk_mul_f32 v[16:17], v[92:93], v[32:33]                  // 000000009BE4: D3B14010 1802415C
	v_pk_mul_f32 v[18:19], v[92:93], v[34:35]                  // 000000009BEC: D3B14012 1802455C
	v_pk_mul_f32 v[20:21], v[92:93], v[36:37]                  // 000000009BF4: D3B14014 1802495C
	v_pk_mul_f32 v[22:23], v[92:93], v[38:39]                  // 000000009BFC: D3B14016 18024D5C
	v_pk_mul_f32 v[24:25], v[92:93], v[40:41]                  // 000000009C04: D3B14018 1802515C
	v_pk_mul_f32 v[26:27], v[92:93], v[42:43]                  // 000000009C0C: D3B1401A 1802555C
	v_pk_mul_f32 v[28:29], v[92:93], v[44:45]                  // 000000009C14: D3B1401C 1802595C
	v_pk_mul_f32 v[30:31], v[92:93], v[46:47]                  // 000000009C1C: D3B1401E 18025D5C
	v_cvt_pk_fp8_f32 v16, v16, v17                             // 000000009C24: D2A20010 00022310
	v_cvt_pk_fp8_f32 v16, v18, v19 op_sel:[0,0,1]              // 000000009C2C: D2A24010 00022712
	v_cvt_pk_fp8_f32 v17, v20, v21                             // 000000009C34: D2A20011 00022B14
	v_cvt_pk_fp8_f32 v17, v22, v23 op_sel:[0,0,1]              // 000000009C3C: D2A24011 00022F16
	v_cvt_pk_fp8_f32 v18, v24, v25                             // 000000009C44: D2A20012 00023318
	v_cvt_pk_fp8_f32 v18, v26, v27 op_sel:[0,0,1]              // 000000009C4C: D2A24012 0002371A
	v_cvt_pk_fp8_f32 v19, v28, v29                             // 000000009C54: D2A20013 00023B1C
	v_cvt_pk_fp8_f32 v19, v30, v31 op_sel:[0,0,1]              // 000000009C5C: D2A24013 00023F1E
	ds_write_b32 v126, v16 offset:2560                         // 000000009C64: D81A0A00 0000107E
	ds_write_b32 v126, v17 offset:3584                         // 000000009C6C: D81A0E00 0000117E
	ds_write_b32 v126, v18 offset:4608                         // 000000009C74: D81A1200 0000127E
	ds_write_b32 v126, v19 offset:5632                         // 000000009C7C: D81A1600 0000137E
	v_rcp_f32_e32 v70, v92                                     // 000000009C84: 7E8C455C
	s_nop 0                                                    // 000000009C88: BF800000
	v_mov_b32_e32 v71, v70                                     // 000000009C8C: 7E8E0346
	v_pk_add_f32 v[56:57], v[56:57], v[48:49]                  // 000000009C90: D3B24038 18026138
	v_pk_add_f32 v[58:59], v[58:59], v[50:51]                  // 000000009C98: D3B2403A 1802653A
	v_pk_add_f32 v[60:61], v[60:61], v[52:53]                  // 000000009CA0: D3B2403C 1802693C
	v_pk_add_f32 v[62:63], v[62:63], v[54:55]                  // 000000009CA8: D3B2403E 18026D3E
	s_waitcnt lgkmcnt(0)                                       // 000000009CB0: BF8CC07F
	s_barrier                                                  // 000000009CB4: BF8A0000
	ds_read_b128 v[16:19], v127 offset:2560                    // 000000009CB8: D9FE0A00 1000007F
	ds_read_b128 v[20:23], v127 offset:3584                    // 000000009CC0: D9FE0E00 1400007F
	ds_read_b128 v[24:27], v127 offset:4608                    // 000000009CC8: D9FE1200 1800007F
	ds_read_b128 v[28:31], v127 offset:5632                    // 000000009CD0: D9FE1600 1C00007F
	s_waitcnt vmcnt(0)                                         // 000000009CD8: BF8C0F70
	s_waitcnt lgkmcnt(3)                                       // 000000009CDC: BF8CC37F
	v_mfma_f32_16x16x32_fp8_fp8 v[48:51], a[64:65], v[16:17], 0// 000000009CE0: D3F30030 0A022140
	v_mfma_f32_16x16x32_fp8_fp8 v[52:55], a[80:81], v[16:17], 0// 000000009CE8: D3F30034 0A022150
	v_mfma_f32_16x16x32_fp8_fp8 v[48:51], a[66:67], v[18:19], v[48:51]// 000000009CF0: D3F30030 0CC22542
	v_mfma_f32_16x16x32_fp8_fp8 v[52:55], a[82:83], v[18:19], v[52:55]// 000000009CF8: D3F30034 0CD22552
	s_waitcnt lgkmcnt(2)                                       // 000000009D00: BF8CC27F
	v_mfma_f32_16x16x32_fp8_fp8 v[48:51], a[68:69], v[20:21], v[48:51]// 000000009D04: D3F30030 0CC22944
	v_mfma_f32_16x16x32_fp8_fp8 v[52:55], a[84:85], v[20:21], v[52:55]// 000000009D0C: D3F30034 0CD22954
	v_mfma_f32_16x16x32_fp8_fp8 v[48:51], a[70:71], v[22:23], v[48:51]// 000000009D14: D3F30030 0CC22D46
	v_mfma_f32_16x16x32_fp8_fp8 v[52:55], a[86:87], v[22:23], v[52:55]// 000000009D1C: D3F30034 0CD22D56
	s_waitcnt lgkmcnt(1)                                       // 000000009D24: BF8CC17F
	v_mfma_f32_16x16x32_fp8_fp8 v[48:51], a[72:73], v[24:25], v[48:51]// 000000009D28: D3F30030 0CC23148
	v_mfma_f32_16x16x32_fp8_fp8 v[52:55], a[88:89], v[24:25], v[52:55]// 000000009D30: D3F30034 0CD23158
	v_mfma_f32_16x16x32_fp8_fp8 v[48:51], a[74:75], v[26:27], v[48:51]// 000000009D38: D3F30030 0CC2354A
	v_mfma_f32_16x16x32_fp8_fp8 v[52:55], a[90:91], v[26:27], v[52:55]// 000000009D40: D3F30034 0CD2355A
	s_waitcnt lgkmcnt(0)                                       // 000000009D48: BF8CC07F
	v_mfma_f32_16x16x32_fp8_fp8 v[48:51], a[76:77], v[28:29], v[48:51]// 000000009D4C: D3F30030 0CC2394C
	v_mfma_f32_16x16x32_fp8_fp8 v[52:55], a[92:93], v[28:29], v[52:55]// 000000009D54: D3F30034 0CD2395C
	v_mfma_f32_16x16x32_fp8_fp8 v[48:51], a[78:79], v[30:31], v[48:51]// 000000009D5C: D3F30030 0CC23D4E
	v_mfma_f32_16x16x32_fp8_fp8 v[52:55], a[94:95], v[30:31], v[52:55]// 000000009D64: D3F30034 0CD23D5E
	s_branch label_1FBE                                        // 000000009D6C: BF820222

0000000000009d70 <label_1D9C>:
	s_waitcnt vmcnt(10)                                        // 000000009D70: BF8C0F7A
	v_mfma_f32_16x16x32_fp8_fp8 v[16:19], a[32:33], v[8:9], 0  // 000000009D74: D3F30010 0A021120
	v_mfma_f32_16x16x32_fp8_fp8 v[16:19], a[34:35], v[10:11], v[16:19]// 000000009D7C: D3F30010 0C421522
	v_mfma_f32_16x16x32_fp8_fp8 v[16:19], a[36:37], v[12:13], v[16:19]// 000000009D84: D3F30010 0C421924
	v_mfma_f32_16x16x32_fp8_fp8 v[16:19], a[38:39], v[14:15], v[16:19]// 000000009D8C: D3F30010 0C421D26
	v_mfma_f32_16x16x32_fp8_fp8 v[20:23], a[40:41], v[8:9], 0  // 000000009D94: D3F30014 0A021128
	v_mfma_f32_16x16x32_fp8_fp8 v[20:23], a[42:43], v[10:11], v[20:23]// 000000009D9C: D3F30014 0C52152A
	v_mfma_f32_16x16x32_fp8_fp8 v[20:23], a[44:45], v[12:13], v[20:23]// 000000009DA4: D3F30014 0C52192C
	v_mfma_f32_16x16x32_fp8_fp8 v[20:23], a[46:47], v[14:15], v[20:23]// 000000009DAC: D3F30014 0C521D2E
	v_mfma_f32_16x16x32_fp8_fp8 v[24:27], a[48:49], v[8:9], 0  // 000000009DB4: D3F30018 0A021130
	v_mfma_f32_16x16x32_fp8_fp8 v[24:27], a[50:51], v[10:11], v[24:27]// 000000009DBC: D3F30018 0C621532
	v_mfma_f32_16x16x32_fp8_fp8 v[24:27], a[52:53], v[12:13], v[24:27]// 000000009DC4: D3F30018 0C621934
	v_mfma_f32_16x16x32_fp8_fp8 v[24:27], a[54:55], v[14:15], v[24:27]// 000000009DCC: D3F30018 0C621D36
	v_mfma_f32_16x16x32_fp8_fp8 v[28:31], a[56:57], v[8:9], 0  // 000000009DD4: D3F3001C 0A021138
	v_mfma_f32_16x16x32_fp8_fp8 v[28:31], a[58:59], v[10:11], v[28:31]// 000000009DDC: D3F3001C 0C72153A
	v_mfma_f32_16x16x32_fp8_fp8 v[28:31], a[60:61], v[12:13], v[28:31]// 000000009DE4: D3F3001C 0C72193C
	v_mfma_f32_16x16x32_fp8_fp8 v[28:31], a[62:63], v[14:15], v[28:31]// 000000009DEC: D3F3001C 0C721D3E
	s_waitcnt vmcnt(8)                                         // 000000009DF4: BF8C0F78
	v_pk_mul_f32 v[16:17], v[64:65], v[16:17]                  // 000000009DF8: D3B14010 18022140
	v_pk_mul_f32 v[18:19], v[64:65], v[18:19]                  // 000000009E00: D3B14012 18022540
	v_mul_f32_dpp v16, v67, v16 row_newbcast:0 row_mask:0xf bank_mask:0xf// 000000009E08: 0A2020FA FF015043
	v_mul_f32_dpp v17, v67, v17 row_newbcast:1 row_mask:0xf bank_mask:0xf// 000000009E10: 0A2222FA FF015143
	v_mul_f32_dpp v18, v67, v18 row_newbcast:2 row_mask:0xf bank_mask:0xf// 000000009E18: 0A2424FA FF015243
	v_mul_f32_dpp v19, v67, v19 row_newbcast:3 row_mask:0xf bank_mask:0xf// 000000009E20: 0A2626FA FF015343
	v_pk_mul_f32 v[20:21], v[64:65], v[20:21]                  // 000000009E28: D3B14014 18022940
	v_pk_mul_f32 v[22:23], v[64:65], v[22:23]                  // 000000009E30: D3B14016 18022D40
	v_mul_f32_dpp v20, v67, v20 row_newbcast:4 row_mask:0xf bank_mask:0xf// 000000009E38: 0A2828FA FF015443
	v_mul_f32_dpp v21, v67, v21 row_newbcast:5 row_mask:0xf bank_mask:0xf// 000000009E40: 0A2A2AFA FF015543
	v_mul_f32_dpp v22, v67, v22 row_newbcast:6 row_mask:0xf bank_mask:0xf// 000000009E48: 0A2C2CFA FF015643
	v_mul_f32_dpp v23, v67, v23 row_newbcast:7 row_mask:0xf bank_mask:0xf// 000000009E50: 0A2E2EFA FF015743
	v_pk_mul_f32 v[24:25], v[64:65], v[24:25]                  // 000000009E58: D3B14018 18023140
	v_pk_mul_f32 v[26:27], v[64:65], v[26:27]                  // 000000009E60: D3B1401A 18023540
	v_mul_f32_dpp v24, v67, v24 row_newbcast:8 row_mask:0xf bank_mask:0xf// 000000009E68: 0A3030FA FF015843
	v_mul_f32_dpp v25, v67, v25 row_newbcast:9 row_mask:0xf bank_mask:0xf// 000000009E70: 0A3232FA FF015943
	v_mul_f32_dpp v26, v67, v26 row_newbcast:10 row_mask:0xf bank_mask:0xf// 000000009E78: 0A3434FA FF015A43
	v_mul_f32_dpp v27, v67, v27 row_newbcast:11 row_mask:0xf bank_mask:0xf// 000000009E80: 0A3636FA FF015B43
	v_pk_mul_f32 v[28:29], v[64:65], v[28:29]                  // 000000009E88: D3B1401C 18023940
	v_pk_mul_f32 v[30:31], v[64:65], v[30:31]                  // 000000009E90: D3B1401E 18023D40
	v_mul_f32_dpp v28, v67, v28 row_newbcast:12 row_mask:0xf bank_mask:0xf// 000000009E98: 0A3838FA FF015C43
	v_mul_f32_dpp v29, v67, v29 row_newbcast:13 row_mask:0xf bank_mask:0xf// 000000009EA0: 0A3A3AFA FF015D43
	v_mul_f32_dpp v30, v67, v30 row_newbcast:14 row_mask:0xf bank_mask:0xf// 000000009EA8: 0A3C3CFA FF015E43
	v_mul_f32_dpp v31, v67, v31 row_newbcast:15 row_mask:0xf bank_mask:0xf// 000000009EB0: 0A3E3EFA FF015F43
	v_add_u32_e32 v72, s56, v104                               // 000000009EB8: 6890D038
	v_add_u32_e32 v73, 0, v72                                  // 000000009EBC: 68929080
	v_cmp_lt_u32_e64 s[86:87], v73, v103                       // 000000009EC0: D0C90056 0002CF49
	s_nop 0                                                    // 000000009EC8: BF800000
	v_cndmask_b32_e64 v16, v105, v16, s[86:87]                 // 000000009ECC: D1000010 015A2169
	v_add_u32_e32 v73, 1, v72                                  // 000000009ED4: 68929081
	v_cmp_lt_u32_e64 s[86:87], v73, v103                       // 000000009ED8: D0C90056 0002CF49
	s_nop 0                                                    // 000000009EE0: BF800000
	v_cndmask_b32_e64 v17, v105, v17, s[86:87]                 // 000000009EE4: D1000011 015A2369
	v_add_u32_e32 v73, 2, v72                                  // 000000009EEC: 68929082
	v_cmp_lt_u32_e64 s[86:87], v73, v103                       // 000000009EF0: D0C90056 0002CF49
	s_nop 0                                                    // 000000009EF8: BF800000
	v_cndmask_b32_e64 v18, v105, v18, s[86:87]                 // 000000009EFC: D1000012 015A2569
	v_add_u32_e32 v73, 3, v72                                  // 000000009F04: 68929083
	v_cmp_lt_u32_e64 s[86:87], v73, v103                       // 000000009F08: D0C90056 0002CF49
	s_nop 0                                                    // 000000009F10: BF800000
	v_cndmask_b32_e64 v19, v105, v19, s[86:87]                 // 000000009F14: D1000013 015A2769
	v_add_u32_e32 v73, 64, v72                                 // 000000009F1C: 689290C0
	v_cmp_lt_u32_e64 s[86:87], v73, v103                       // 000000009F20: D0C90056 0002CF49
	s_nop 0                                                    // 000000009F28: BF800000
	v_cndmask_b32_e64 v20, v105, v20, s[86:87]                 // 000000009F2C: D1000014 015A2969
	v_add_u32_e32 v73, 0x41, v72                               // 000000009F34: 689290FF 00000041
	v_cmp_lt_u32_e64 s[86:87], v73, v103                       // 000000009F3C: D0C90056 0002CF49
	s_nop 0                                                    // 000000009F44: BF800000
	v_cndmask_b32_e64 v21, v105, v21, s[86:87]                 // 000000009F48: D1000015 015A2B69
	v_add_u32_e32 v73, 0x42, v72                               // 000000009F50: 689290FF 00000042
	v_cmp_lt_u32_e64 s[86:87], v73, v103                       // 000000009F58: D0C90056 0002CF49
	s_nop 0                                                    // 000000009F60: BF800000
	v_cndmask_b32_e64 v22, v105, v22, s[86:87]                 // 000000009F64: D1000016 015A2D69
	v_add_u32_e32 v73, 0x43, v72                               // 000000009F6C: 689290FF 00000043
	v_cmp_lt_u32_e64 s[86:87], v73, v103                       // 000000009F74: D0C90056 0002CF49
	s_nop 0                                                    // 000000009F7C: BF800000
	v_cndmask_b32_e64 v23, v105, v23, s[86:87]                 // 000000009F80: D1000017 015A2F69
	v_add_u32_e32 v73, 0x80, v72                               // 000000009F88: 689290FF 00000080
	v_cmp_lt_u32_e64 s[86:87], v73, v103                       // 000000009F90: D0C90056 0002CF49
	s_nop 0                                                    // 000000009F98: BF800000
	v_cndmask_b32_e64 v24, v105, v24, s[86:87]                 // 000000009F9C: D1000018 015A3169
	v_add_u32_e32 v73, 0x81, v72                               // 000000009FA4: 689290FF 00000081
	v_cmp_lt_u32_e64 s[86:87], v73, v103                       // 000000009FAC: D0C90056 0002CF49
	s_nop 0                                                    // 000000009FB4: BF800000
	v_cndmask_b32_e64 v25, v105, v25, s[86:87]                 // 000000009FB8: D1000019 015A3369
	v_add_u32_e32 v73, 0x82, v72                               // 000000009FC0: 689290FF 00000082
	v_cmp_lt_u32_e64 s[86:87], v73, v103                       // 000000009FC8: D0C90056 0002CF49
	s_nop 0                                                    // 000000009FD0: BF800000
	v_cndmask_b32_e64 v26, v105, v26, s[86:87]                 // 000000009FD4: D100001A 015A3569
	v_add_u32_e32 v73, 0x83, v72                               // 000000009FDC: 689290FF 00000083
	v_cmp_lt_u32_e64 s[86:87], v73, v103                       // 000000009FE4: D0C90056 0002CF49
	s_nop 0                                                    // 000000009FEC: BF800000
	v_cndmask_b32_e64 v27, v105, v27, s[86:87]                 // 000000009FF0: D100001B 015A3769
	v_add_u32_e32 v73, 0xc0, v72                               // 000000009FF8: 689290FF 000000C0
	v_cmp_lt_u32_e64 s[86:87], v73, v103                       // 00000000A000: D0C90056 0002CF49
	s_nop 0                                                    // 00000000A008: BF800000
	v_cndmask_b32_e64 v28, v105, v28, s[86:87]                 // 00000000A00C: D100001C 015A3969
	v_add_u32_e32 v73, 0xc1, v72                               // 00000000A014: 689290FF 000000C1
	v_cmp_lt_u32_e64 s[86:87], v73, v103                       // 00000000A01C: D0C90056 0002CF49
	s_nop 0                                                    // 00000000A024: BF800000
	v_cndmask_b32_e64 v29, v105, v29, s[86:87]                 // 00000000A028: D100001D 015A3B69
	v_add_u32_e32 v73, 0xc2, v72                               // 00000000A030: 689290FF 000000C2
	v_cmp_lt_u32_e64 s[86:87], v73, v103                       // 00000000A038: D0C90056 0002CF49
	s_nop 0                                                    // 00000000A040: BF800000
	v_cndmask_b32_e64 v30, v105, v30, s[86:87]                 // 00000000A044: D100001E 015A3D69
	v_add_u32_e32 v73, 0xc3, v72                               // 00000000A04C: 689290FF 000000C3
	v_cmp_lt_u32_e64 s[86:87], v73, v103                       // 00000000A054: D0C90056 0002CF49
	s_nop 0                                                    // 00000000A05C: BF800000
	v_cndmask_b32_e64 v31, v105, v31, s[86:87]                 // 00000000A060: D100001F 015A3F69
	v_mov_b32_e32 v92, v16                                     // 00000000A068: 7EB80310
	v_max3_f32 v92, v16, v17, v92                              // 00000000A06C: D1D3005C 05722310
	v_max3_f32 v92, v18, v19, v92                              // 00000000A074: D1D3005C 05722712
	v_max3_f32 v92, v20, v21, v92                              // 00000000A07C: D1D3005C 05722B14
	v_max3_f32 v92, v22, v23, v92                              // 00000000A084: D1D3005C 05722F16
	v_max3_f32 v92, v24, v25, v92                              // 00000000A08C: D1D3005C 05723318
	v_max3_f32 v92, v26, v27, v92                              // 00000000A094: D1D3005C 0572371A
	v_max3_f32 v92, v28, v29, v92                              // 00000000A09C: D1D3005C 05723B1C
	v_max3_f32 v92, v30, v31, v92                              // 00000000A0A4: D1D3005C 05723F1E
	ds_write_b32 v124, v92                                     // 00000000A0AC: D81A0000 00005C7C
	v_pk_mul_f32 v[56:57], v[94:95], v[56:57]                  // 00000000A0B4: D3B14038 1802715E
	v_pk_mul_f32 v[58:59], v[94:95], v[58:59]                  // 00000000A0BC: D3B1403A 1802755E
	v_pk_mul_f32 v[60:61], v[94:95], v[60:61]                  // 00000000A0C4: D3B1403C 1802795E
	v_pk_mul_f32 v[62:63], v[94:95], v[62:63]                  // 00000000A0CC: D3B1403E 18027D5E
	s_waitcnt lgkmcnt(0)                                       // 00000000A0D4: BF8CC07F
	s_barrier                                                  // 00000000A0D8: BF8A0000
	ds_read_b32 v76, v125                                      // 00000000A0DC: D86C0000 4C00007D
	ds_read_b32 v77, v125 offset:64                            // 00000000A0E4: D86C0040 4D00007D
	ds_read_b32 v78, v125 offset:128                           // 00000000A0EC: D86C0080 4E00007D
	ds_read_b32 v79, v125 offset:192                           // 00000000A0F4: D86C00C0 4F00007D
	ds_read_b32 v80, v125 offset:256                           // 00000000A0FC: D86C0100 5000007D
	ds_read_b32 v81, v125 offset:320                           // 00000000A104: D86C0140 5100007D
	ds_read_b32 v82, v125 offset:384                           // 00000000A10C: D86C0180 5200007D
	ds_read_b32 v83, v125 offset:448                           // 00000000A114: D86C01C0 5300007D
	ds_read_b32 v84, v125 offset:512                           // 00000000A11C: D86C0200 5400007D
	ds_read_b32 v85, v125 offset:576                           // 00000000A124: D86C0240 5500007D
	ds_read_b32 v86, v125 offset:640                           // 00000000A12C: D86C0280 5600007D
	ds_read_b32 v87, v125 offset:704                           // 00000000A134: D86C02C0 5700007D
	ds_read_b32 v88, v125 offset:768                           // 00000000A13C: D86C0300 5800007D
	ds_read_b32 v89, v125 offset:832                           // 00000000A144: D86C0340 5900007D
	ds_read_b32 v90, v125 offset:896                           // 00000000A14C: D86C0380 5A00007D
	ds_read_b32 v91, v125 offset:960                           // 00000000A154: D86C03C0 5B00007D
	v_pk_mul_f32 v[48:49], v[70:71], v[48:49]                  // 00000000A15C: D3B14030 18026146
	v_pk_mul_f32 v[50:51], v[70:71], v[50:51]                  // 00000000A164: D3B14032 18026546
	v_pk_mul_f32 v[52:53], v[70:71], v[52:53]                  // 00000000A16C: D3B14034 18026946
	v_pk_mul_f32 v[54:55], v[70:71], v[54:55]                  // 00000000A174: D3B14036 18026D46
	s_waitcnt lgkmcnt(0)                                       // 00000000A17C: BF8CC07F
	v_max3_f32 v92, v76, v77, v92                              // 00000000A180: D1D3005C 05729B4C
	v_max3_f32 v92, v78, v79, v92                              // 00000000A188: D1D3005C 05729F4E
	v_max3_f32 v92, v80, v81, v92                              // 00000000A190: D1D3005C 0572A350
	v_max3_f32 v92, v82, v83, v92                              // 00000000A198: D1D3005C 0572A752
	v_max3_f32 v92, v84, v85, v92                              // 00000000A1A0: D1D3005C 0572AB54
	v_max3_f32 v92, v86, v87, v92                              // 00000000A1A8: D1D3005C 0572AF56
	v_max3_f32 v92, v88, v89, v92                              // 00000000A1B0: D1D3005C 0572B358
	v_max3_f32 v92, v90, v91, v92                              // 00000000A1B8: D1D3005C 0572B75A
	v_max_f32_e32 v97, v92, v96                                // 00000000A1C0: 16C2C15C
	v_mul_f32_e64 v72, -s58, v97                               // 00000000A1C4: D1050048 2002C23A
	v_mov_b32_e32 v73, v72                                     // 00000000A1CC: 7E920348
	v_pk_fma_f32 v[16:17], v[16:17], s[88:89], v[72:73]        // 00000000A1D0: D3B04010 1D20B110
	v_pk_fma_f32 v[18:19], v[18:19], s[88:89], v[72:73]        // 00000000A1D8: D3B04012 1D20B112
	v_exp_f32_e32 v16, v16                                     // 00000000A1E0: 7E204110
	v_exp_f32_e32 v17, v17                                     // 00000000A1E4: 7E224111
	v_exp_f32_e32 v18, v18                                     // 00000000A1E8: 7E244112
	v_exp_f32_e32 v19, v19                                     // 00000000A1EC: 7E264113
	v_pk_fma_f32 v[20:21], v[20:21], s[88:89], v[72:73]        // 00000000A1F0: D3B04014 1D20B114
	v_pk_fma_f32 v[22:23], v[22:23], s[88:89], v[72:73]        // 00000000A1F8: D3B04016 1D20B116
	v_exp_f32_e32 v20, v20                                     // 00000000A200: 7E284114
	v_exp_f32_e32 v21, v21                                     // 00000000A204: 7E2A4115
	v_exp_f32_e32 v22, v22                                     // 00000000A208: 7E2C4116
	v_exp_f32_e32 v23, v23                                     // 00000000A20C: 7E2E4117
	v_pk_fma_f32 v[24:25], v[24:25], s[88:89], v[72:73]        // 00000000A210: D3B04018 1D20B118
	v_pk_fma_f32 v[26:27], v[26:27], s[88:89], v[72:73]        // 00000000A218: D3B0401A 1D20B11A
	v_exp_f32_e32 v24, v24                                     // 00000000A220: 7E304118
	v_exp_f32_e32 v25, v25                                     // 00000000A224: 7E324119
	v_exp_f32_e32 v26, v26                                     // 00000000A228: 7E34411A
	v_exp_f32_e32 v27, v27                                     // 00000000A22C: 7E36411B
	v_pk_fma_f32 v[28:29], v[28:29], s[88:89], v[72:73]        // 00000000A230: D3B0401C 1D20B11C
	v_pk_fma_f32 v[30:31], v[30:31], s[88:89], v[72:73]        // 00000000A238: D3B0401E 1D20B11E
	v_exp_f32_e32 v28, v28                                     // 00000000A240: 7E38411C
	v_exp_f32_e32 v29, v29                                     // 00000000A244: 7E3A411D
	v_exp_f32_e32 v30, v30                                     // 00000000A248: 7E3C411E
	v_exp_f32_e32 v31, v31                                     // 00000000A24C: 7E3E411F
	v_mul_f32_dpp v32, v69, v16 row_newbcast:0 row_mask:0xf bank_mask:0xf// 00000000A250: 0A4020FA FF015045
	v_mul_f32_dpp v33, v69, v17 row_newbcast:1 row_mask:0xf bank_mask:0xf// 00000000A258: 0A4222FA FF015145
	v_mul_f32_dpp v34, v69, v18 row_newbcast:2 row_mask:0xf bank_mask:0xf// 00000000A260: 0A4424FA FF015245
	v_mul_f32_dpp v35, v69, v19 row_newbcast:3 row_mask:0xf bank_mask:0xf// 00000000A268: 0A4626FA FF015345
	v_mul_f32_dpp v36, v69, v20 row_newbcast:4 row_mask:0xf bank_mask:0xf// 00000000A270: 0A4828FA FF015445
	v_mul_f32_dpp v37, v69, v21 row_newbcast:5 row_mask:0xf bank_mask:0xf// 00000000A278: 0A4A2AFA FF015545
	v_mul_f32_dpp v38, v69, v22 row_newbcast:6 row_mask:0xf bank_mask:0xf// 00000000A280: 0A4C2CFA FF015645
	v_mul_f32_dpp v39, v69, v23 row_newbcast:7 row_mask:0xf bank_mask:0xf// 00000000A288: 0A4E2EFA FF015745
	v_mul_f32_dpp v40, v69, v24 row_newbcast:8 row_mask:0xf bank_mask:0xf// 00000000A290: 0A5030FA FF015845
	v_mul_f32_dpp v41, v69, v25 row_newbcast:9 row_mask:0xf bank_mask:0xf// 00000000A298: 0A5232FA FF015945
	v_mul_f32_dpp v42, v69, v26 row_newbcast:10 row_mask:0xf bank_mask:0xf// 00000000A2A0: 0A5434FA FF015A45
	v_mul_f32_dpp v43, v69, v27 row_newbcast:11 row_mask:0xf bank_mask:0xf// 00000000A2A8: 0A5636FA FF015B45
	v_mul_f32_dpp v44, v69, v28 row_newbcast:12 row_mask:0xf bank_mask:0xf// 00000000A2B0: 0A5838FA FF015C45
	v_mul_f32_dpp v45, v69, v29 row_newbcast:13 row_mask:0xf bank_mask:0xf// 00000000A2B8: 0A5A3AFA FF015D45
	v_mul_f32_dpp v46, v69, v30 row_newbcast:14 row_mask:0xf bank_mask:0xf// 00000000A2C0: 0A5C3CFA FF015E45
	v_mul_f32_dpp v47, v69, v31 row_newbcast:15 row_mask:0xf bank_mask:0xf// 00000000A2C8: 0A5E3EFA FF015F45
	v_mov_b32_e32 v92, 0x358637bd                              // 00000000A2D0: 7EB802FF 358637BD
	v_max3_f32 v92, |v32|, |v33|, v92                          // 00000000A2D8: D1D3035C 05724320
	v_max3_f32 v92, |v34|, |v35|, v92                          // 00000000A2E0: D1D3035C 05724722
	v_max3_f32 v92, |v36|, |v37|, v92                          // 00000000A2E8: D1D3035C 05724B24
	v_max3_f32 v92, |v38|, |v39|, v92                          // 00000000A2F0: D1D3035C 05724F26
	v_max3_f32 v92, |v40|, |v41|, v92                          // 00000000A2F8: D1D3035C 05725328
	v_max3_f32 v92, |v42|, |v43|, v92                          // 00000000A300: D1D3035C 0572572A
	v_max3_f32 v92, |v44|, |v45|, v92                          // 00000000A308: D1D3035C 05725B2C
	v_max3_f32 v92, |v46|, |v47|, v92                          // 00000000A310: D1D3035C 05725F2E
	ds_write_b32 v124, v92 offset:1280                         // 00000000A318: D81A0500 00005C7C
	v_sub_f32_e32 v94, v96, v97                                // 00000000A320: 04BCC360
	v_cmp_eq_u32_e64 s[86:87], v105, v96                       // 00000000A324: D0CA0056 0002C169
	s_nop 0                                                    // 00000000A32C: BF800000
	v_cndmask_b32_e64 v94, v94, 0, s[86:87]                    // 00000000A330: D100005E 0159015E
	v_mov_b32_e32 v96, v97                                     // 00000000A338: 7EC00361
	v_mul_f32_e32 v94, s58, v94                                // 00000000A33C: 0ABCBC3A
	v_exp_f32_e32 v94, v94                                     // 00000000A340: 7EBC415E
	s_nop 0                                                    // 00000000A344: BF800000
	v_mov_b32_e32 v95, v94                                     // 00000000A348: 7EBE035E
	s_waitcnt lgkmcnt(0)                                       // 00000000A34C: BF8CC07F
	s_barrier                                                  // 00000000A350: BF8A0000
	ds_read_b32 v76, v125 offset:1280                          // 00000000A354: D86C0500 4C00007D
	ds_read_b32 v77, v125 offset:1344                          // 00000000A35C: D86C0540 4D00007D
	ds_read_b32 v78, v125 offset:1408                          // 00000000A364: D86C0580 4E00007D
	ds_read_b32 v79, v125 offset:1472                          // 00000000A36C: D86C05C0 4F00007D
	ds_read_b32 v80, v125 offset:1536                          // 00000000A374: D86C0600 5000007D
	ds_read_b32 v81, v125 offset:1600                          // 00000000A37C: D86C0640 5100007D
	ds_read_b32 v82, v125 offset:1664                          // 00000000A384: D86C0680 5200007D
	ds_read_b32 v83, v125 offset:1728                          // 00000000A38C: D86C06C0 5300007D
	ds_read_b32 v84, v125 offset:1792                          // 00000000A394: D86C0700 5400007D
	ds_read_b32 v85, v125 offset:1856                          // 00000000A39C: D86C0740 5500007D
	ds_read_b32 v86, v125 offset:1920                          // 00000000A3A4: D86C0780 5600007D
	ds_read_b32 v87, v125 offset:1984                          // 00000000A3AC: D86C07C0 5700007D
	ds_read_b32 v88, v125 offset:2048                          // 00000000A3B4: D86C0800 5800007D
	ds_read_b32 v89, v125 offset:2112                          // 00000000A3BC: D86C0840 5900007D
	ds_read_b32 v90, v125 offset:2176                          // 00000000A3C4: D86C0880 5A00007D
	ds_read_b32 v91, v125 offset:2240                          // 00000000A3CC: D86C08C0 5B00007D
	v_mul_f32_e32 v98, v94, v98                                // 00000000A3D4: 0AC4C55E
	v_add_f32_e32 v98, v16, v98                                // 00000000A3D8: 02C4C510
	v_add_f32_e32 v98, v17, v98                                // 00000000A3DC: 02C4C511
	v_add_f32_e32 v98, v18, v98                                // 00000000A3E0: 02C4C512
	v_add_f32_e32 v98, v19, v98                                // 00000000A3E4: 02C4C513
	v_add_f32_e32 v98, v20, v98                                // 00000000A3E8: 02C4C514
	v_add_f32_e32 v98, v21, v98                                // 00000000A3EC: 02C4C515
	v_add_f32_e32 v98, v22, v98                                // 00000000A3F0: 02C4C516
	v_add_f32_e32 v98, v23, v98                                // 00000000A3F4: 02C4C517
	v_add_f32_e32 v98, v24, v98                                // 00000000A3F8: 02C4C518
	v_add_f32_e32 v98, v25, v98                                // 00000000A3FC: 02C4C519
	v_add_f32_e32 v98, v26, v98                                // 00000000A400: 02C4C51A
	v_add_f32_e32 v98, v27, v98                                // 00000000A404: 02C4C51B
	v_add_f32_e32 v98, v28, v98                                // 00000000A408: 02C4C51C
	v_add_f32_e32 v98, v29, v98                                // 00000000A40C: 02C4C51D
	v_add_f32_e32 v98, v30, v98                                // 00000000A410: 02C4C51E
	v_add_f32_e32 v98, v31, v98                                // 00000000A414: 02C4C51F
	s_waitcnt lgkmcnt(0)                                       // 00000000A418: BF8CC07F
	v_max3_f32 v92, v76, v77, v92                              // 00000000A41C: D1D3005C 05729B4C
	v_max3_f32 v92, v78, v79, v92                              // 00000000A424: D1D3005C 05729F4E
	v_max3_f32 v92, v80, v81, v92                              // 00000000A42C: D1D3005C 0572A350
	v_max3_f32 v92, v82, v83, v92                              // 00000000A434: D1D3005C 0572A752
	v_max3_f32 v92, v84, v85, v92                              // 00000000A43C: D1D3005C 0572AB54
	v_max3_f32 v92, v86, v87, v92                              // 00000000A444: D1D3005C 0572AF56
	v_max3_f32 v92, v88, v89, v92                              // 00000000A44C: D1D3005C 0572B358
	v_max3_f32 v92, v90, v91, v92                              // 00000000A454: D1D3005C 0572B75A
	v_rcp_f32_e32 v92, v92                                     // 00000000A45C: 7EB8455C
	s_nop 0                                                    // 00000000A460: BF800000
	v_mul_f32_e32 v92, 0x43700000, v92                         // 00000000A464: 0AB8B8FF 43700000
	v_mov_b32_e32 v93, v92                                     // 00000000A46C: 7EBA035C
	v_pk_mul_f32 v[16:17], v[92:93], v[32:33]                  // 00000000A470: D3B14010 1802415C
	v_pk_mul_f32 v[18:19], v[92:93], v[34:35]                  // 00000000A478: D3B14012 1802455C
	v_pk_mul_f32 v[20:21], v[92:93], v[36:37]                  // 00000000A480: D3B14014 1802495C
	v_pk_mul_f32 v[22:23], v[92:93], v[38:39]                  // 00000000A488: D3B14016 18024D5C
	v_pk_mul_f32 v[24:25], v[92:93], v[40:41]                  // 00000000A490: D3B14018 1802515C
	v_pk_mul_f32 v[26:27], v[92:93], v[42:43]                  // 00000000A498: D3B1401A 1802555C
	v_pk_mul_f32 v[28:29], v[92:93], v[44:45]                  // 00000000A4A0: D3B1401C 1802595C
	v_pk_mul_f32 v[30:31], v[92:93], v[46:47]                  // 00000000A4A8: D3B1401E 18025D5C
	v_cvt_pk_fp8_f32 v16, v16, v17                             // 00000000A4B0: D2A20010 00022310
	v_cvt_pk_fp8_f32 v16, v18, v19 op_sel:[0,0,1]              // 00000000A4B8: D2A24010 00022712
	v_cvt_pk_fp8_f32 v17, v20, v21                             // 00000000A4C0: D2A20011 00022B14
	v_cvt_pk_fp8_f32 v17, v22, v23 op_sel:[0,0,1]              // 00000000A4C8: D2A24011 00022F16
	v_cvt_pk_fp8_f32 v18, v24, v25                             // 00000000A4D0: D2A20012 00023318
	v_cvt_pk_fp8_f32 v18, v26, v27 op_sel:[0,0,1]              // 00000000A4D8: D2A24012 0002371A
	v_cvt_pk_fp8_f32 v19, v28, v29                             // 00000000A4E0: D2A20013 00023B1C
	v_cvt_pk_fp8_f32 v19, v30, v31 op_sel:[0,0,1]              // 00000000A4E8: D2A24013 00023F1E
	ds_write_b32 v126, v16 offset:2560                         // 00000000A4F0: D81A0A00 0000107E
	ds_write_b32 v126, v17 offset:3584                         // 00000000A4F8: D81A0E00 0000117E
	ds_write_b32 v126, v18 offset:4608                         // 00000000A500: D81A1200 0000127E
	ds_write_b32 v126, v19 offset:5632                         // 00000000A508: D81A1600 0000137E
	v_rcp_f32_e32 v70, v92                                     // 00000000A510: 7E8C455C
	s_nop 0                                                    // 00000000A514: BF800000
	v_mov_b32_e32 v71, v70                                     // 00000000A518: 7E8E0346
	v_pk_add_f32 v[56:57], v[56:57], v[48:49]                  // 00000000A51C: D3B24038 18026138
	v_pk_add_f32 v[58:59], v[58:59], v[50:51]                  // 00000000A524: D3B2403A 1802653A
	v_pk_add_f32 v[60:61], v[60:61], v[52:53]                  // 00000000A52C: D3B2403C 1802693C
	v_pk_add_f32 v[62:63], v[62:63], v[54:55]                  // 00000000A534: D3B2403E 18026D3E
	s_waitcnt lgkmcnt(0)                                       // 00000000A53C: BF8CC07F
	s_barrier                                                  // 00000000A540: BF8A0000
	ds_read_b128 v[16:19], v127 offset:2560                    // 00000000A544: D9FE0A00 1000007F
	ds_read_b128 v[20:23], v127 offset:3584                    // 00000000A54C: D9FE0E00 1400007F
	ds_read_b128 v[24:27], v127 offset:4608                    // 00000000A554: D9FE1200 1800007F
	ds_read_b128 v[28:31], v127 offset:5632                    // 00000000A55C: D9FE1600 1C00007F
	s_waitcnt vmcnt(0)                                         // 00000000A564: BF8C0F70
	s_waitcnt lgkmcnt(3)                                       // 00000000A568: BF8CC37F
	v_mfma_f32_16x16x32_fp8_fp8 v[48:51], a[96:97], v[16:17], 0// 00000000A56C: D3F30030 0A022160
	v_mfma_f32_16x16x32_fp8_fp8 v[52:55], a[112:113], v[16:17], 0// 00000000A574: D3F30034 0A022170
	v_mfma_f32_16x16x32_fp8_fp8 v[48:51], a[98:99], v[18:19], v[48:51]// 00000000A57C: D3F30030 0CC22562
	v_mfma_f32_16x16x32_fp8_fp8 v[52:55], a[114:115], v[18:19], v[52:55]// 00000000A584: D3F30034 0CD22572
	s_waitcnt lgkmcnt(2)                                       // 00000000A58C: BF8CC27F
	v_mfma_f32_16x16x32_fp8_fp8 v[48:51], a[100:101], v[20:21], v[48:51]// 00000000A590: D3F30030 0CC22964
	v_mfma_f32_16x16x32_fp8_fp8 v[52:55], a[116:117], v[20:21], v[52:55]// 00000000A598: D3F30034 0CD22974
	v_mfma_f32_16x16x32_fp8_fp8 v[48:51], a[102:103], v[22:23], v[48:51]// 00000000A5A0: D3F30030 0CC22D66
	v_mfma_f32_16x16x32_fp8_fp8 v[52:55], a[118:119], v[22:23], v[52:55]// 00000000A5A8: D3F30034 0CD22D76
	s_waitcnt lgkmcnt(1)                                       // 00000000A5B0: BF8CC17F
	v_mfma_f32_16x16x32_fp8_fp8 v[48:51], a[104:105], v[24:25], v[48:51]// 00000000A5B4: D3F30030 0CC23168
	v_mfma_f32_16x16x32_fp8_fp8 v[52:55], a[120:121], v[24:25], v[52:55]// 00000000A5BC: D3F30034 0CD23178
	v_mfma_f32_16x16x32_fp8_fp8 v[48:51], a[106:107], v[26:27], v[48:51]// 00000000A5C4: D3F30030 0CC2356A
	v_mfma_f32_16x16x32_fp8_fp8 v[52:55], a[122:123], v[26:27], v[52:55]// 00000000A5CC: D3F30034 0CD2357A
	s_waitcnt lgkmcnt(0)                                       // 00000000A5D4: BF8CC07F
	v_mfma_f32_16x16x32_fp8_fp8 v[48:51], a[108:109], v[28:29], v[48:51]// 00000000A5D8: D3F30030 0CC2396C
	v_mfma_f32_16x16x32_fp8_fp8 v[52:55], a[124:125], v[28:29], v[52:55]// 00000000A5E0: D3F30034 0CD2397C
	v_mfma_f32_16x16x32_fp8_fp8 v[48:51], a[110:111], v[30:31], v[48:51]// 00000000A5E8: D3F30030 0CC23D6E
	v_mfma_f32_16x16x32_fp8_fp8 v[52:55], a[126:127], v[30:31], v[52:55]// 00000000A5F0: D3F30034 0CD23D7E

000000000000a5f8 <label_1FBE>:
	ds_write_b32 v124, v98                                     // 00000000A5F8: D81A0000 0000627C
	v_pk_mul_f32 v[56:57], v[94:95], v[56:57]                  // 00000000A600: D3B14038 1802715E
	v_pk_mul_f32 v[58:59], v[94:95], v[58:59]                  // 00000000A608: D3B1403A 1802755E
	v_pk_mul_f32 v[60:61], v[94:95], v[60:61]                  // 00000000A610: D3B1403C 1802795E
	v_pk_mul_f32 v[62:63], v[94:95], v[62:63]                  // 00000000A618: D3B1403E 18027D5E
	s_waitcnt lgkmcnt(0)                                       // 00000000A620: BF8CC07F
	s_barrier                                                  // 00000000A624: BF8A0000
	ds_read_b32 v76, v125                                      // 00000000A628: D86C0000 4C00007D
	ds_read_b32 v77, v125 offset:64                            // 00000000A630: D86C0040 4D00007D
	ds_read_b32 v78, v125 offset:128                           // 00000000A638: D86C0080 4E00007D
	ds_read_b32 v79, v125 offset:192                           // 00000000A640: D86C00C0 4F00007D
	ds_read_b32 v80, v125 offset:256                           // 00000000A648: D86C0100 5000007D
	ds_read_b32 v81, v125 offset:320                           // 00000000A650: D86C0140 5100007D
	ds_read_b32 v82, v125 offset:384                           // 00000000A658: D86C0180 5200007D
	ds_read_b32 v83, v125 offset:448                           // 00000000A660: D86C01C0 5300007D
	ds_read_b32 v84, v125 offset:512                           // 00000000A668: D86C0200 5400007D
	ds_read_b32 v85, v125 offset:576                           // 00000000A670: D86C0240 5500007D
	ds_read_b32 v86, v125 offset:640                           // 00000000A678: D86C0280 5600007D
	ds_read_b32 v87, v125 offset:704                           // 00000000A680: D86C02C0 5700007D
	ds_read_b32 v88, v125 offset:768                           // 00000000A688: D86C0300 5800007D
	ds_read_b32 v89, v125 offset:832                           // 00000000A690: D86C0340 5900007D
	ds_read_b32 v90, v125 offset:896                           // 00000000A698: D86C0380 5A00007D
	ds_read_b32 v91, v125 offset:960                           // 00000000A6A0: D86C03C0 5B00007D
	v_pk_mul_f32 v[48:49], v[70:71], v[48:49]                  // 00000000A6A8: D3B14030 18026146
	v_pk_mul_f32 v[50:51], v[70:71], v[50:51]                  // 00000000A6B0: D3B14032 18026546
	v_pk_mul_f32 v[52:53], v[70:71], v[52:53]                  // 00000000A6B8: D3B14034 18026946
	v_pk_mul_f32 v[54:55], v[70:71], v[54:55]                  // 00000000A6C0: D3B14036 18026D46
	v_pk_add_f32 v[56:57], v[56:57], v[48:49]                  // 00000000A6C8: D3B24038 18026138
	v_pk_add_f32 v[58:59], v[58:59], v[50:51]                  // 00000000A6D0: D3B2403A 1802653A
	v_pk_add_f32 v[60:61], v[60:61], v[52:53]                  // 00000000A6D8: D3B2403C 1802693C
	v_pk_add_f32 v[62:63], v[62:63], v[54:55]                  // 00000000A6E0: D3B2403E 18026D3E
	s_waitcnt lgkmcnt(0)                                       // 00000000A6E8: BF8CC07F
	v_mov_b64_e32 v[92:93], 0                                  // 00000000A6EC: 7EB87080
	v_pk_add_f32 v[92:93], v[76:77], v[92:93]                  // 00000000A6F0: D3B2405C 1802B94C
	v_pk_add_f32 v[92:93], v[78:79], v[92:93]                  // 00000000A6F8: D3B2405C 1802B94E
	v_pk_add_f32 v[92:93], v[80:81], v[92:93]                  // 00000000A700: D3B2405C 1802B950
	v_pk_add_f32 v[92:93], v[82:83], v[92:93]                  // 00000000A708: D3B2405C 1802B952
	v_pk_add_f32 v[92:93], v[84:85], v[92:93]                  // 00000000A710: D3B2405C 1802B954
	v_pk_add_f32 v[92:93], v[86:87], v[92:93]                  // 00000000A718: D3B2405C 1802B956
	v_pk_add_f32 v[92:93], v[88:89], v[92:93]                  // 00000000A720: D3B2405C 1802B958
	v_pk_add_f32 v[92:93], v[90:91], v[92:93]                  // 00000000A728: D3B2405C 1802B95A
	v_add_f32_e32 v98, v92, v93                                // 00000000A730: 02C4BB5C
	v_rcp_f32_e32 v92, v98                                     // 00000000A734: 7EB84562
	s_nop 0                                                    // 00000000A738: BF800000
	v_mov_b32_e32 v93, v92                                     // 00000000A73C: 7EBA035C
	v_pk_mul_f32 v[56:57], v[92:93], v[56:57]                  // 00000000A740: D3B14038 1802715C
	v_pk_mul_f32 v[58:59], v[92:93], v[58:59]                  // 00000000A748: D3B1403A 1802755C
	v_pk_mul_f32 v[60:61], v[92:93], v[60:61]                  // 00000000A750: D3B1403C 1802795C
	v_pk_mul_f32 v[62:63], v[92:93], v[62:63]                  // 00000000A758: D3B1403E 18027D5C
	s_cmp_lt_i32 s93, 0                                        // 00000000A760: BF04805D
	s_cbranch_scc0 label_205E                                  // 00000000A764: BF840044
	v_cmp_u_f32_e64 s[86:87], v56, v56                         // 00000000A768: D0480056 00027138
	v_add3_u32 v99, v56, v102, 1                               // 00000000A770: D1FF0063 0206CD38
	v_cndmask_b32_e64 v72, v99, v101, s[86:87]                 // 00000000A778: D1000048 015ACB63
	v_cmp_u_f32_e64 s[86:87], v57, v57                         // 00000000A780: D0480056 00027339
	v_add3_u32 v99, v57, v102, 1                               // 00000000A788: D1FF0063 0206CD39
	v_cndmask_b32_e64 v73, v99, v101, s[86:87]                 // 00000000A790: D1000049 015ACB63
	v_perm_b32 v56, v73, v72, s50                              // 00000000A798: D1ED0038 00CA9149
	v_cmp_u_f32_e64 s[86:87], v58, v58                         // 00000000A7A0: D0480056 0002753A
	v_add3_u32 v99, v58, v102, 1                               // 00000000A7A8: D1FF0063 0206CD3A
	v_cndmask_b32_e64 v72, v99, v101, s[86:87]                 // 00000000A7B0: D1000048 015ACB63
	v_cmp_u_f32_e64 s[86:87], v59, v59                         // 00000000A7B8: D0480056 0002773B
	v_add3_u32 v99, v59, v102, 1                               // 00000000A7C0: D1FF0063 0206CD3B
	v_cndmask_b32_e64 v73, v99, v101, s[86:87]                 // 00000000A7C8: D1000049 015ACB63
	v_perm_b32 v57, v73, v72, s50                              // 00000000A7D0: D1ED0039 00CA9149
	v_cmp_u_f32_e64 s[86:87], v60, v60                         // 00000000A7D8: D0480056 0002793C
	v_add3_u32 v99, v60, v102, 1                               // 00000000A7E0: D1FF0063 0206CD3C
	v_cndmask_b32_e64 v72, v99, v101, s[86:87]                 // 00000000A7E8: D1000048 015ACB63
	v_cmp_u_f32_e64 s[86:87], v61, v61                         // 00000000A7F0: D0480056 00027B3D
	v_add3_u32 v99, v61, v102, 1                               // 00000000A7F8: D1FF0063 0206CD3D
	v_cndmask_b32_e64 v73, v99, v101, s[86:87]                 // 00000000A800: D1000049 015ACB63
	v_perm_b32 v58, v73, v72, s50                              // 00000000A808: D1ED003A 00CA9149
	v_cmp_u_f32_e64 s[86:87], v62, v62                         // 00000000A810: D0480056 00027D3E
	v_add3_u32 v99, v62, v102, 1                               // 00000000A818: D1FF0063 0206CD3E
	v_cndmask_b32_e64 v72, v99, v101, s[86:87]                 // 00000000A820: D1000048 015ACB63
	v_cmp_u_f32_e64 s[86:87], v63, v63                         // 00000000A828: D0480056 00027F3F
	v_add3_u32 v99, v63, v102, 1                               // 00000000A830: D1FF0063 0206CD3F
	v_cndmask_b32_e64 v73, v99, v101, s[86:87]                 // 00000000A838: D1000049 015ACB63
	v_perm_b32 v59, v73, v72, s50                              // 00000000A840: D1ED003B 00CA9149
	ds_write_b64 v122, v[56:57] offset:2560                    // 00000000A848: D89A0A00 0000387A
	ds_write_b64 v122, v[58:59] offset:4864                    // 00000000A850: D89A1300 00003A7A
	s_waitcnt lgkmcnt(0)                                       // 00000000A858: BF8CC07F
	s_barrier                                                  // 00000000A85C: BF8A0000
	ds_read_b128 v[56:59], v123 offset:2560                    // 00000000A860: D9FE0A00 3800007B
	s_waitcnt lgkmcnt(0)                                       // 00000000A868: BF8CC07F
	buffer_store_dwordx4 v[56:59], v107, s[4:7], 0 offen       // 00000000A86C: E07C1000 8001386B
	s_branch label_206E                                        // 00000000A874: BF820010

000000000000a878 <label_205E>:
	buffer_store_dwordx4 v[56:59], v116, s[40:43], 0 offen     // 00000000A878: E07C1000 800A3874
	v_add_u32_e32 v116, 0x100, v116                            // 00000000A880: 68E8E8FF 00000100
	buffer_store_dwordx4 v[60:63], v116, s[40:43], 0 offen     // 00000000A888: E07C1000 800A3C74
	v_add_u32_e32 v116, 0x100, v116                            // 00000000A890: 68E8E8FF 00000100
	v_log_f32_e32 v72, v98                                     // 00000000A898: 7E904362
	s_nop 0                                                    // 00000000A89C: BF800000
	v_fma_f32 v128, v96, s58, v72                              // 00000000A8A0: D1CB0080 05207560
	v_mul_f32_e32 v128, 0x3f317218, v128                       // 00000000A8A8: 0B0100FF 3F317218
	buffer_store_dword v128, v117, s[44:47], 0 offen           // 00000000A8B0: E0701000 800B8075

000000000000a8b8 <label_206E>:
	s_addk_i32 s90, 0x1                                        // 00000000A8B8: B75A0001
	s_cmp_lt_i32 s90, s91                                      // 00000000A8BC: BF045B5A
	s_cbranch_scc1 label_0037                                  // 00000000A8C0: BF85DFC6

000000000000a8c4 <label_2071>:
	s_waitcnt vmcnt(0) expcnt(0) lgkmcnt(0)                    // 00000000A8C4: BF8C0000
	s_endpgm                                                   // 00000000A8C8: BF810000
